;; amdgpu-corpus repo=ROCm/rocFFT kind=compiled arch=gfx906 opt=O3
	.text
	.amdgcn_target "amdgcn-amd-amdhsa--gfx906"
	.amdhsa_code_object_version 6
	.protected	bluestein_single_back_len540_dim1_half_op_CI_CI ; -- Begin function bluestein_single_back_len540_dim1_half_op_CI_CI
	.globl	bluestein_single_back_len540_dim1_half_op_CI_CI
	.p2align	8
	.type	bluestein_single_back_len540_dim1_half_op_CI_CI,@function
bluestein_single_back_len540_dim1_half_op_CI_CI: ; @bluestein_single_back_len540_dim1_half_op_CI_CI
; %bb.0:
	s_load_dwordx4 s[12:15], s[4:5], 0x28
	v_mul_u32_u24_e32 v1, 0x4be, v0
	v_lshrrev_b32_e32 v2, 16, v1
	v_lshl_add_u32 v18, s6, 2, v2
	v_mov_b32_e32 v19, 0
	s_waitcnt lgkmcnt(0)
	v_cmp_gt_u64_e32 vcc, s[12:13], v[18:19]
	s_and_saveexec_b64 s[0:1], vcc
	s_cbranch_execz .LBB0_31
; %bb.1:
	s_load_dwordx4 s[0:3], s[4:5], 0x18
	s_load_dwordx2 s[12:13], s[4:5], 0x0
	v_mul_lo_u16_e32 v1, 54, v2
	v_sub_u16_e32 v48, v0, v1
	v_lshlrev_b32_e32 v34, 2, v48
	s_waitcnt lgkmcnt(0)
	s_load_dwordx4 s[8:11], s[0:1], 0x0
	global_load_dword v49, v34, s[12:13]
	global_load_dword v47, v34, s[12:13] offset:720
	s_load_dwordx2 s[6:7], s[4:5], 0x38
	s_waitcnt lgkmcnt(0)
	v_mad_u64_u32 v[0:1], s[0:1], s10, v18, 0
	v_mad_u64_u32 v[3:4], s[0:1], s8, v48, 0
	v_mad_u64_u32 v[5:6], s[0:1], s11, v18, v[1:2]
	v_and_b32_e32 v2, 3, v2
	v_mul_u32_u24_e32 v27, 0x21c, v2
	v_mad_u64_u32 v[6:7], s[0:1], s9, v48, v[4:5]
	v_mov_b32_e32 v1, v5
	v_lshlrev_b64 v[0:1], 2, v[0:1]
	v_mov_b32_e32 v7, s15
	v_mov_b32_e32 v4, v6
	v_add_co_u32_e32 v5, vcc, s14, v0
	v_addc_co_u32_e32 v6, vcc, v7, v1, vcc
	v_lshlrev_b64 v[0:1], 2, v[3:4]
	s_mul_i32 s0, s9, 0xb4
	v_add_co_u32_e32 v0, vcc, v5, v0
	v_addc_co_u32_e32 v1, vcc, v6, v1, vcc
	s_mul_hi_u32 s1, s8, 0xb4
	global_load_dword v5, v[0:1], off
	s_add_i32 s1, s1, s0
	s_mul_i32 s0, s8, 0xb4
	s_lshl_b64 s[14:15], s[0:1], 2
	v_mov_b32_e32 v6, s15
	v_add_co_u32_e32 v0, vcc, s14, v0
	v_addc_co_u32_e32 v1, vcc, v1, v6, vcc
	v_add_co_u32_e32 v3, vcc, s14, v0
	v_addc_co_u32_e32 v4, vcc, v1, v6, vcc
	global_load_dword v7, v[0:1], off
	global_load_dword v8, v[3:4], off
	global_load_dword v46, v34, s[12:13] offset:1440
	s_mul_hi_u32 s1, s8, 0xfffffece
	s_mul_i32 s0, s9, 0xfffffece
	s_sub_i32 s1, s1, s8
	s_add_i32 s1, s1, s0
	s_mul_i32 s0, s8, 0xfffffece
	s_lshl_b64 s[16:17], s[0:1], 2
	v_mov_b32_e32 v9, s17
	v_add_co_u32_e32 v0, vcc, s16, v3
	v_addc_co_u32_e32 v1, vcc, v4, v9, vcc
	global_load_dword v3, v[0:1], off
	global_load_dword v45, v34, s[12:13] offset:216
	v_add_co_u32_e32 v0, vcc, s14, v0
	v_addc_co_u32_e32 v1, vcc, v1, v6, vcc
	global_load_dword v4, v[0:1], off
	global_load_dword v44, v34, s[12:13] offset:936
	;; [unrolled: 4-line block ×4, first 2 shown]
	global_load_dword v42, v34, s[12:13] offset:432
	v_add_co_u32_e32 v0, vcc, s14, v0
	v_addc_co_u32_e32 v1, vcc, v1, v6, vcc
	global_load_dword v11, v[0:1], off
	v_add_co_u32_e32 v0, vcc, s14, v0
	v_addc_co_u32_e32 v1, vcc, v1, v6, vcc
	global_load_dword v6, v[0:1], off
	global_load_dword v40, v34, s[12:13] offset:1872
	v_mov_b32_e32 v2, s13
	v_add_co_u32_e32 v16, vcc, s12, v34
	v_addc_co_u32_e32 v17, vcc, 0, v2, vcc
	v_lshlrev_b32_e32 v50, 2, v27
	v_add_u32_e32 v39, v50, v34
	s_load_dwordx4 s[8:11], s[2:3], 0x0
	v_cmp_gt_u16_e64 s[0:1], 18, v48
	s_waitcnt vmcnt(15)
	v_lshrrev_b32_e32 v2, 16, v5
	v_mul_f16_sdwa v12, v49, v5 dst_sel:DWORD dst_unused:UNUSED_PAD src0_sel:WORD_1 src1_sel:DWORD
	v_mul_f16_sdwa v13, v49, v2 dst_sel:DWORD dst_unused:UNUSED_PAD src0_sel:WORD_1 src1_sel:DWORD
	v_fma_f16 v5, v49, v5, v13
	v_fma_f16 v2, v49, v2, -v12
	v_pack_b32_f16 v2, v5, v2
	s_waitcnt vmcnt(14)
	v_lshrrev_b32_e32 v5, 16, v7
	v_mul_f16_sdwa v12, v47, v5 dst_sel:DWORD dst_unused:UNUSED_PAD src0_sel:WORD_1 src1_sel:DWORD
	v_fma_f16 v12, v47, v7, v12
	v_mul_f16_sdwa v7, v47, v7 dst_sel:DWORD dst_unused:UNUSED_PAD src0_sel:WORD_1 src1_sel:DWORD
	v_fma_f16 v5, v47, v5, -v7
	v_pack_b32_f16 v5, v12, v5
	ds_write_b32 v39, v5 offset:720
	s_waitcnt vmcnt(13)
	v_lshrrev_b32_e32 v5, 16, v8
	s_waitcnt vmcnt(12)
	v_mul_f16_sdwa v7, v46, v5 dst_sel:DWORD dst_unused:UNUSED_PAD src0_sel:WORD_1 src1_sel:DWORD
	v_fma_f16 v7, v46, v8, v7
	v_mul_f16_sdwa v8, v46, v8 dst_sel:DWORD dst_unused:UNUSED_PAD src0_sel:WORD_1 src1_sel:DWORD
	v_fma_f16 v5, v46, v5, -v8
	v_pack_b32_f16 v5, v7, v5
	ds_write_b32 v39, v5 offset:1440
	s_waitcnt vmcnt(11)
	v_lshrrev_b32_e32 v5, 16, v3
	s_waitcnt vmcnt(10)
	v_mul_f16_sdwa v7, v45, v5 dst_sel:DWORD dst_unused:UNUSED_PAD src0_sel:WORD_1 src1_sel:DWORD
	v_fma_f16 v7, v45, v3, v7
	v_mul_f16_sdwa v3, v45, v3 dst_sel:DWORD dst_unused:UNUSED_PAD src0_sel:WORD_1 src1_sel:DWORD
	v_fma_f16 v3, v45, v5, -v3
	v_pack_b32_f16 v3, v7, v3
	ds_write2_b32 v39, v2, v3 offset1:54
	s_waitcnt vmcnt(9)
	v_lshrrev_b32_e32 v2, 16, v4
	s_waitcnt vmcnt(8)
	v_mul_f16_sdwa v3, v44, v2 dst_sel:DWORD dst_unused:UNUSED_PAD src0_sel:WORD_1 src1_sel:DWORD
	v_fma_f16 v3, v44, v4, v3
	v_mul_f16_sdwa v4, v44, v4 dst_sel:DWORD dst_unused:UNUSED_PAD src0_sel:WORD_1 src1_sel:DWORD
	v_fma_f16 v2, v44, v2, -v4
	v_pack_b32_f16 v2, v3, v2
	s_waitcnt vmcnt(7)
	v_lshrrev_b32_e32 v3, 16, v10
	s_waitcnt vmcnt(6)
	v_mul_f16_sdwa v4, v43, v3 dst_sel:DWORD dst_unused:UNUSED_PAD src0_sel:WORD_1 src1_sel:DWORD
	v_mul_f16_sdwa v5, v43, v10 dst_sel:DWORD dst_unused:UNUSED_PAD src0_sel:WORD_1 src1_sel:DWORD
	v_fma_f16 v4, v43, v10, v4
	v_fma_f16 v3, v43, v3, -v5
	v_pack_b32_f16 v3, v4, v3
	s_waitcnt vmcnt(5)
	v_lshrrev_b32_e32 v4, 16, v9
	s_waitcnt vmcnt(3)
	v_mul_f16_sdwa v5, v42, v4 dst_sel:DWORD dst_unused:UNUSED_PAD src0_sel:WORD_1 src1_sel:DWORD
	v_mul_f16_sdwa v7, v42, v9 dst_sel:DWORD dst_unused:UNUSED_PAD src0_sel:WORD_1 src1_sel:DWORD
	v_fma_f16 v5, v42, v9, v5
	v_fma_f16 v4, v42, v4, -v7
	v_pack_b32_f16 v4, v5, v4
	ds_write_b32 v39, v4 offset:432
	s_waitcnt vmcnt(2)
	v_lshrrev_b32_e32 v4, 16, v11
	v_mul_f16_sdwa v5, v41, v4 dst_sel:DWORD dst_unused:UNUSED_PAD src0_sel:WORD_1 src1_sel:DWORD
	v_mul_f16_sdwa v7, v41, v11 dst_sel:DWORD dst_unused:UNUSED_PAD src0_sel:WORD_1 src1_sel:DWORD
	v_fma_f16 v5, v41, v11, v5
	v_fma_f16 v4, v41, v4, -v7
	v_pack_b32_f16 v5, v5, v4
	v_add_u32_e32 v4, 0x200, v39
	ds_write2_b32 v4, v2, v5 offset0:106 offset1:160
	s_waitcnt vmcnt(1)
	v_lshrrev_b32_e32 v2, 16, v6
	s_waitcnt vmcnt(0)
	v_mul_f16_sdwa v5, v40, v2 dst_sel:DWORD dst_unused:UNUSED_PAD src0_sel:WORD_1 src1_sel:DWORD
	v_fma_f16 v5, v40, v6, v5
	v_mul_f16_sdwa v6, v40, v6 dst_sel:DWORD dst_unused:UNUSED_PAD src0_sel:WORD_1 src1_sel:DWORD
	v_fma_f16 v2, v40, v2, -v6
	v_pack_b32_f16 v2, v5, v2
	v_add_u32_e32 v5, 0x400, v39
	ds_write2_b32 v5, v3, v2 offset0:158 offset1:212
	s_and_saveexec_b64 s[2:3], s[0:1]
	s_cbranch_execz .LBB0_3
; %bb.2:
	v_mov_b32_e32 v2, s17
	v_add_co_u32_e32 v0, vcc, s16, v0
	v_addc_co_u32_e32 v1, vcc, v1, v2, vcc
	global_load_dword v2, v[0:1], off
	global_load_dword v3, v[16:17], off offset:648
	v_mov_b32_e32 v6, s15
	v_add_co_u32_e32 v0, vcc, s14, v0
	v_addc_co_u32_e32 v1, vcc, v1, v6, vcc
	global_load_dword v7, v[0:1], off
	global_load_dword v8, v[16:17], off offset:1368
	v_add_co_u32_e32 v0, vcc, s14, v0
	v_addc_co_u32_e32 v1, vcc, v1, v6, vcc
	global_load_dword v6, v[0:1], off
	global_load_dword v9, v[16:17], off offset:2088
	s_waitcnt vmcnt(5)
	v_lshrrev_b32_e32 v0, 16, v2
	s_waitcnt vmcnt(4)
	v_mul_f16_sdwa v1, v3, v2 dst_sel:DWORD dst_unused:UNUSED_PAD src0_sel:WORD_1 src1_sel:DWORD
	v_mul_f16_sdwa v10, v3, v0 dst_sel:DWORD dst_unused:UNUSED_PAD src0_sel:WORD_1 src1_sel:DWORD
	v_fma_f16 v0, v3, v0, -v1
	v_fma_f16 v2, v3, v2, v10
	v_pack_b32_f16 v0, v2, v0
	s_waitcnt vmcnt(3)
	v_lshrrev_b32_e32 v1, 16, v7
	s_waitcnt vmcnt(2)
	v_mul_f16_sdwa v11, v8, v7 dst_sel:DWORD dst_unused:UNUSED_PAD src0_sel:WORD_1 src1_sel:DWORD
	v_mul_f16_sdwa v3, v8, v1 dst_sel:DWORD dst_unused:UNUSED_PAD src0_sel:WORD_1 src1_sel:DWORD
	v_fma_f16 v1, v8, v1, -v11
	v_fma_f16 v2, v8, v7, v3
	s_waitcnt vmcnt(1)
	v_lshrrev_b32_e32 v10, 16, v6
	s_waitcnt vmcnt(0)
	v_mul_f16_sdwa v11, v9, v6 dst_sel:DWORD dst_unused:UNUSED_PAD src0_sel:WORD_1 src1_sel:DWORD
	v_mul_f16_sdwa v3, v9, v10 dst_sel:DWORD dst_unused:UNUSED_PAD src0_sel:WORD_1 src1_sel:DWORD
	v_fma_f16 v7, v9, v10, -v11
	v_pack_b32_f16 v1, v2, v1
	v_fma_f16 v2, v9, v6, v3
	ds_write2_b32 v4, v0, v1 offset0:34 offset1:214
	v_pack_b32_f16 v0, v2, v7
	ds_write_b32 v39, v0 offset:2088
.LBB0_3:
	s_or_b64 exec, exec, s[2:3]
	s_waitcnt lgkmcnt(0)
	s_barrier
	ds_read2_b32 v[6:7], v39 offset1:54
	ds_read2_b32 v[2:3], v39 offset0:108 offset1:180
	ds_read2_b32 v[8:9], v5 offset0:104 offset1:158
	ds_read2_b32 v[4:5], v4 offset0:106 offset1:160
	ds_read_b32 v11, v39 offset:1872
	s_load_dwordx2 s[4:5], s[4:5], 0x8
                                        ; implicit-def: $vgpr0
                                        ; implicit-def: $vgpr10
	s_and_saveexec_b64 s[2:3], s[0:1]
	s_cbranch_execz .LBB0_5
; %bb.4:
	v_add_u32_e32 v0, 0x200, v39
	ds_read2_b32 v[0:1], v0 offset0:34 offset1:214
	ds_read_b32 v10, v39 offset:2088
.LBB0_5:
	s_or_b64 exec, exec, s[2:3]
	v_add_co_u32_e32 v38, vcc, 54, v48
	v_add_co_u32_e32 v37, vcc, 0x6c, v48
	s_movk_i32 s2, 0xa2
	v_add_co_u32_e32 v35, vcc, s2, v48
	v_addc_co_u32_e64 v36, s[2:3], 0, 0, vcc
	s_waitcnt lgkmcnt(0)
	v_pk_add_f16 v15, v1, v10
	v_pk_add_f16 v19, v1, v10 neg_lo:[0,1] neg_hi:[0,1]
	s_movk_i32 s2, 0x3aee
	v_pk_fma_f16 v15, v15, 0.5, v0 op_sel_hi:[1,0,1] neg_lo:[1,0,0] neg_hi:[1,0,0]
	v_pk_mul_f16 v20, v19, s2 op_sel_hi:[1,0]
	v_pk_add_f16 v19, v15, v20 op_sel:[0,1] op_sel_hi:[1,0]
	v_pk_add_f16 v20, v15, v20 op_sel:[0,1] op_sel_hi:[1,0] neg_lo:[0,1] neg_hi:[0,1]
	v_mul_lo_u16_e32 v15, 3, v48
	v_pk_add_f16 v12, v6, v3
	v_lshl_add_u32 v51, v15, 2, v50
	v_pk_add_f16 v15, v3, v8
	v_pk_add_f16 v3, v3, v8 neg_lo:[0,1] neg_hi:[0,1]
	v_pk_fma_f16 v6, v15, 0.5, v6 op_sel_hi:[1,0,1] neg_lo:[1,0,0] neg_hi:[1,0,0]
	v_pk_mul_f16 v3, v3, s2 op_sel_hi:[1,0]
	v_pk_add_f16 v12, v12, v8
	v_pk_add_f16 v8, v6, v3 op_sel:[0,1] op_sel_hi:[1,0]
	v_pk_add_f16 v3, v6, v3 op_sel:[0,1] op_sel_hi:[1,0] neg_lo:[0,1] neg_hi:[0,1]
	s_mov_b32 s14, 0xffff
	v_bfi_b32 v6, s14, v8, v3
	v_pk_add_f16 v13, v7, v4
	s_barrier
	ds_write2_b32 v51, v12, v6 offset1:1
	v_pk_add_f16 v6, v4, v9
	v_pk_add_f16 v4, v4, v9 neg_lo:[0,1] neg_hi:[0,1]
	v_bfi_b32 v3, s14, v3, v8
	v_pk_fma_f16 v6, v6, 0.5, v7 op_sel_hi:[1,0,1] neg_lo:[1,0,0] neg_hi:[1,0,0]
	v_pk_mul_f16 v4, v4, s2 op_sel_hi:[1,0]
	ds_write_b32 v51, v3 offset:8
	v_mul_u32_u24_e32 v3, 3, v38
	v_pk_add_f16 v7, v6, v4 op_sel:[0,1] op_sel_hi:[1,0]
	v_pk_add_f16 v4, v6, v4 op_sel:[0,1] op_sel_hi:[1,0] neg_lo:[0,1] neg_hi:[0,1]
	v_lshl_add_u32 v52, v3, 2, v50
	v_pk_add_f16 v3, v13, v9
	v_bfi_b32 v6, s14, v7, v4
	ds_write2_b32 v52, v3, v6 offset1:1
	v_bfi_b32 v3, s14, v4, v7
	v_pk_add_f16 v4, v5, v11
	v_pk_add_f16 v14, v2, v5
	v_pk_fma_f16 v2, v4, 0.5, v2 op_sel_hi:[1,0,1] neg_lo:[1,0,0] neg_hi:[1,0,0]
	v_pk_add_f16 v4, v5, v11 neg_lo:[0,1] neg_hi:[0,1]
	v_pk_mul_f16 v4, v4, s2 op_sel_hi:[1,0]
	ds_write_b32 v52, v3 offset:8
	v_mul_u32_u24_e32 v3, 3, v37
	v_pk_add_f16 v5, v2, v4 op_sel:[0,1] op_sel_hi:[1,0]
	v_pk_add_f16 v2, v2, v4 op_sel:[0,1] op_sel_hi:[1,0] neg_lo:[0,1] neg_hi:[0,1]
	v_lshrrev_b32_e32 v28, 16, v19
	v_lshl_add_u32 v53, v3, 2, v50
	v_pk_add_f16 v3, v14, v11
	v_bfi_b32 v4, s14, v5, v2
	v_bfi_b32 v2, s14, v2, v5
	v_mul_u32_u24_e32 v54, 3, v35
	ds_write2_b32 v53, v3, v4 offset1:1
	ds_write_b32 v53, v2 offset:8
	s_and_saveexec_b64 s[2:3], s[0:1]
	s_cbranch_execz .LBB0_7
; %bb.6:
	v_pk_add_f16 v0, v0, v1
	v_lshl_add_u32 v2, v54, 2, v50
	v_pk_add_f16 v0, v0, v10
	ds_write_b32 v2, v0
	v_bfi_b32 v0, s14, v19, v20
	s_mov_b32 s14, 0x5040100
	v_perm_b32 v1, v28, v20, s14
	ds_write2_b32 v2, v0, v1 offset0:1 offset1:2
.LBB0_7:
	s_or_b64 exec, exec, s[2:3]
	s_movk_i32 s2, 0xab
	v_mul_lo_u16_sdwa v0, v48, s2 dst_sel:DWORD dst_unused:UNUSED_PAD src0_sel:BYTE_0 src1_sel:DWORD
	v_lshrrev_b16_e32 v25, 9, v0
	v_mul_lo_u16_e32 v0, 3, v25
	v_sub_u16_e32 v0, v48, v0
	v_and_b32_e32 v26, 0xff, v0
	v_mad_u64_u32 v[8:9], s[2:3], v26, 36, s[4:5]
	s_waitcnt lgkmcnt(0)
	s_barrier
	global_load_dwordx4 v[0:3], v[8:9], off
	global_load_dwordx4 v[4:7], v[8:9], off offset:16
	global_load_dword v55, v[8:9], off offset:32
	v_add_u32_e32 v9, 0x200, v39
	ds_read2_b32 v[10:11], v39 offset1:54
	ds_read2_b32 v[12:13], v39 offset0:108 offset1:162
	v_add_u32_e32 v8, 0x400, v39
	ds_read2_b32 v[14:15], v9 offset0:88 offset1:142
	ds_read2_b32 v[21:22], v8 offset0:68 offset1:122
	;; [unrolled: 1-line block ×3, first 2 shown]
	s_movk_i32 s15, 0x3b9c
	s_mov_b32 s3, 0xbb9c
	s_waitcnt lgkmcnt(3)
	v_lshrrev_b32_e32 v31, 16, v12
	s_waitcnt lgkmcnt(2)
	v_lshrrev_b32_e32 v33, 16, v14
	;; [unrolled: 2-line block ×4, first 2 shown]
	v_lshrrev_b32_e32 v32, 16, v13
	v_lshrrev_b32_e32 v56, 16, v15
	;; [unrolled: 1-line block ×3, first 2 shown]
	s_movk_i32 s14, 0x38b4
	s_mov_b32 s2, 0xb8b4
	s_movk_i32 s16, 0x34f2
	v_lshrrev_b32_e32 v58, 16, v22
	v_lshrrev_b32_e32 v30, 16, v11
	;; [unrolled: 1-line block ×3, first 2 shown]
	s_movk_i32 s17, 0x3a79
	s_waitcnt vmcnt(0)
	s_barrier
	v_cmp_gt_u16_e32 vcc, 36, v48
	v_mul_f16_sdwa v61, v31, v1 dst_sel:DWORD dst_unused:UNUSED_PAD src0_sel:DWORD src1_sel:WORD_1
	v_mul_f16_sdwa v65, v33, v3 dst_sel:DWORD dst_unused:UNUSED_PAD src0_sel:DWORD src1_sel:WORD_1
	;; [unrolled: 1-line block ×8, first 2 shown]
	v_fma_f16 v12, v12, v1, -v61
	v_fma_f16 v14, v14, v3, -v65
	v_fma_f16 v21, v21, v5, -v69
	v_fma_f16 v23, v23, v7, -v75
	v_mul_f16_sdwa v63, v32, v2 dst_sel:DWORD dst_unused:UNUSED_PAD src0_sel:DWORD src1_sel:WORD_1
	v_mul_f16_sdwa v64, v13, v2 dst_sel:DWORD dst_unused:UNUSED_PAD src0_sel:DWORD src1_sel:WORD_1
	;; [unrolled: 1-line block ×4, first 2 shown]
	v_fma_f16 v31, v31, v1, v62
	v_fma_f16 v33, v33, v3, v66
	;; [unrolled: 1-line block ×4, first 2 shown]
	v_add_f16_e32 v62, v14, v21
	v_add_f16_e32 v65, v12, v23
	v_fma_f16 v13, v13, v2, -v63
	v_fma_f16 v15, v15, v4, -v67
	v_fma_f16 v32, v32, v2, v64
	v_fma_f16 v56, v56, v4, v68
	v_add_f16_e32 v61, v10, v12
	v_sub_f16_e32 v63, v31, v59
	v_sub_f16_e32 v64, v12, v14
	;; [unrolled: 1-line block ×6, first 2 shown]
	v_fma_f16 v62, v62, -0.5, v10
	v_fma_f16 v10, v65, -0.5, v10
	v_add_f16_e32 v64, v64, v66
	v_add_f16_e32 v65, v67, v68
	v_fma_f16 v66, v63, s15, v62
	v_fma_f16 v62, v63, s3, v62
	v_fma_f16 v67, v69, s3, v10
	v_fma_f16 v10, v69, s15, v10
	v_add_f16_e32 v61, v61, v14
	v_fma_f16 v66, v69, s14, v66
	v_fma_f16 v62, v69, s2, v62
	v_fma_f16 v67, v63, s14, v67
	v_fma_f16 v10, v63, s2, v10
	;; [unrolled: 5-line block ×3, first 2 shown]
	v_add_f16_e32 v65, v33, v57
	v_add_f16_e32 v61, v61, v23
	v_fma_f16 v65, v65, -0.5, v29
	v_sub_f16_e32 v12, v12, v23
	v_sub_f16_e32 v14, v14, v21
	;; [unrolled: 1-line block ×4, first 2 shown]
	v_add_f16_e32 v21, v21, v23
	v_fma_f16 v23, v12, s3, v65
	v_fma_f16 v23, v14, s2, v23
	;; [unrolled: 1-line block ×6, first 2 shown]
	v_add_f16_e32 v21, v31, v59
	v_mul_f16_sdwa v71, v58, v6 dst_sel:DWORD dst_unused:UNUSED_PAD src0_sel:DWORD src1_sel:WORD_1
	v_fma_f16 v21, v21, -0.5, v29
	v_mul_f16_sdwa v72, v22, v6 dst_sel:DWORD dst_unused:UNUSED_PAD src0_sel:DWORD src1_sel:WORD_1
	v_mul_f16_sdwa v74, v30, v0 dst_sel:DWORD dst_unused:UNUSED_PAD src0_sel:DWORD src1_sel:WORD_1
	v_mul_f16_sdwa v78, v24, v55 dst_sel:DWORD dst_unused:UNUSED_PAD src0_sel:DWORD src1_sel:WORD_1
	v_fma_f16 v22, v22, v6, -v71
	v_fma_f16 v23, v14, s15, v21
	v_fma_f16 v14, v14, s3, v21
	v_mul_f16_sdwa v73, v11, v0 dst_sel:DWORD dst_unused:UNUSED_PAD src0_sel:DWORD src1_sel:WORD_1
	v_mul_f16_sdwa v77, v60, v55 dst_sel:DWORD dst_unused:UNUSED_PAD src0_sel:DWORD src1_sel:WORD_1
	v_fma_f16 v11, v11, v0, -v74
	v_fma_f16 v60, v60, v55, v78
	v_add_f16_e32 v63, v29, v31
	v_fma_f16 v23, v12, s2, v23
	v_sub_f16_e32 v29, v33, v31
	v_sub_f16_e32 v31, v57, v59
	v_fma_f16 v12, v12, s14, v14
	v_add_f16_e32 v14, v15, v22
	v_fma_f16 v58, v58, v6, v72
	v_fma_f16 v24, v24, v55, -v77
	v_add_f16_e32 v63, v63, v33
	v_add_f16_e32 v29, v29, v31
	v_fma_f16 v14, v14, -0.5, v11
	v_sub_f16_e32 v21, v32, v60
	v_add_f16_e32 v63, v63, v57
	v_fma_f16 v31, v29, s16, v23
	v_fma_f16 v12, v29, s16, v12
	v_fma_f16 v23, v21, s15, v14
	v_sub_f16_e32 v29, v56, v58
	v_sub_f16_e32 v33, v13, v15
	;; [unrolled: 1-line block ×3, first 2 shown]
	v_fma_f16 v14, v21, s3, v14
	v_fma_f16 v23, v29, s14, v23
	v_add_f16_e32 v33, v33, v57
	v_fma_f16 v14, v29, s2, v14
	v_fma_f16 v57, v33, s16, v23
	;; [unrolled: 1-line block ×3, first 2 shown]
	v_sub_f16_e32 v23, v15, v13
	v_sub_f16_e32 v33, v22, v24
	v_add_f16_e32 v23, v23, v33
	v_add_f16_e32 v33, v13, v24
	v_fma_f16 v33, v33, -0.5, v11
	v_add_f16_e32 v63, v63, v59
	v_fma_f16 v59, v29, s3, v33
	v_fma_f16 v29, v29, s15, v33
	;; [unrolled: 1-line block ×6, first 2 shown]
	v_add_f16_e32 v21, v30, v32
	v_add_f16_e32 v21, v21, v56
	;; [unrolled: 1-line block ×8, first 2 shown]
	v_fma_f16 v33, v23, s16, v33
	v_fma_f16 v21, v21, -0.5, v30
	v_sub_f16_e32 v13, v13, v24
	v_sub_f16_e32 v15, v15, v22
	;; [unrolled: 1-line block ×4, first 2 shown]
	v_add_f16_e32 v22, v22, v23
	v_fma_f16 v23, v13, s3, v21
	v_fma_f16 v21, v13, s15, v21
	;; [unrolled: 1-line block ×4, first 2 shown]
	v_add_f16_e32 v21, v32, v60
	v_fma_f16 v23, v15, s2, v23
	v_fma_f16 v21, v21, -0.5, v30
	v_add_f16_e32 v11, v11, v24
	v_fma_f16 v68, v22, s16, v23
	v_fma_f16 v22, v15, s15, v21
	v_sub_f16_e32 v23, v56, v32
	v_sub_f16_e32 v24, v58, v60
	v_fma_f16 v22, v13, s2, v22
	v_add_f16_e32 v23, v23, v24
	v_fma_f16 v15, v15, s3, v21
	v_fma_f16 v30, v23, s16, v22
	;; [unrolled: 1-line block ×4, first 2 shown]
	v_mul_f16_e32 v22, 0x3b9c, v30
	v_mul_f16_e32 v23, 0x34f2, v29
	;; [unrolled: 1-line block ×3, first 2 shown]
	v_fma_f16 v22, v33, s16, v22
	v_fma_f16 v23, v13, s15, -v23
	v_fma_f16 v32, v69, s14, -v24
	v_mul_f16_e32 v21, 0x38b4, v68
	v_add_f16_e32 v60, v64, v22
	v_sub_f16_e32 v22, v64, v22
	v_add_f16_e32 v64, v10, v23
	v_sub_f16_e32 v23, v10, v23
	v_sub_f16_e32 v24, v62, v32
	v_add_f16_e32 v10, v62, v32
	v_mul_f16_e32 v32, 0xb8b4, v57
	v_mul_f16_e32 v33, 0xbb9c, v33
	;; [unrolled: 1-line block ×3, first 2 shown]
	v_fma_f16 v21, v57, s17, v21
	v_fma_f16 v32, v68, s17, v32
	;; [unrolled: 1-line block ×3, first 2 shown]
	v_fma_f16 v13, v29, s3, -v13
	v_mul_f16_e32 v29, 0x3a79, v69
	v_add_f16_e32 v56, v66, v21
	v_sub_f16_e32 v21, v66, v21
	v_add_f16_e32 v57, v67, v32
	v_add_f16_e32 v33, v31, v30
	;; [unrolled: 1-line block ×3, first 2 shown]
	v_fma_f16 v14, v14, s2, -v29
	v_sub_f16_e32 v29, v67, v32
	v_sub_f16_e32 v32, v31, v30
	;; [unrolled: 1-line block ×3, first 2 shown]
	v_mul_u32_u24_e32 v12, 30, v25
	v_add_f16_e32 v15, v61, v11
	v_add_f16_e32 v62, v63, v59
	;; [unrolled: 1-line block ×3, first 2 shown]
	v_sub_f16_e32 v11, v61, v11
	v_sub_f16_e32 v59, v63, v59
	v_add_u32_e32 v12, v12, v26
	v_lshl_add_u32 v58, v12, 2, v50
	v_pack_b32_f16 v10, v10, v68
	v_pack_b32_f16 v11, v11, v59
	v_sub_f16_e32 v30, v65, v14
	v_pack_b32_f16 v12, v15, v62
	v_pack_b32_f16 v13, v56, v57
	ds_write2_b32 v58, v10, v11 offset0:12 offset1:15
	v_pack_b32_f16 v10, v21, v29
	v_pack_b32_f16 v11, v22, v32
	ds_write2_b32 v58, v12, v13 offset1:3
	v_pack_b32_f16 v12, v60, v33
	v_pack_b32_f16 v13, v64, v66
	ds_write2_b32 v58, v10, v11 offset0:18 offset1:21
	v_pack_b32_f16 v10, v23, v31
	v_pack_b32_f16 v11, v24, v30
	ds_write2_b32 v58, v12, v13 offset0:6 offset1:9
	ds_write2_b32 v58, v10, v11 offset0:24 offset1:27
	s_waitcnt lgkmcnt(0)
	s_barrier
	ds_read2_b32 v[25:26], v39 offset1:90
	ds_read2_b32 v[14:15], v9 offset0:52 offset1:142
	ds_read2_b32 v[12:13], v8 offset0:104 offset1:194
	v_lshrrev_b32_e32 v33, 16, v20
	s_and_saveexec_b64 s[2:3], vcc
	s_cbranch_execz .LBB0_9
; %bb.8:
	ds_read2_b32 v[21:22], v39 offset0:54 offset1:144
	ds_read2_b32 v[23:24], v9 offset0:106 offset1:196
	;; [unrolled: 1-line block ×3, first 2 shown]
	s_waitcnt lgkmcnt(2)
	v_lshrrev_b32_e32 v29, 16, v21
	v_lshrrev_b32_e32 v32, 16, v22
	s_waitcnt lgkmcnt(1)
	v_lshrrev_b32_e32 v31, 16, v23
	v_lshrrev_b32_e32 v30, 16, v24
	;; [unrolled: 3-line block ×3, first 2 shown]
.LBB0_9:
	s_or_b64 exec, exec, s[2:3]
	v_subrev_u32_e32 v8, 30, v48
	v_cmp_gt_u16_e64 s[2:3], 30, v48
	v_cndmask_b32_e64 v67, v8, v48, s[2:3]
	v_mul_i32_i24_e32 v9, 20, v67
	v_mul_hi_i32_i24_e32 v8, 20, v67
	v_add_co_u32_e64 v56, s[2:3], s4, v9
	v_mov_b32_e32 v9, s5
	v_addc_co_u32_e64 v57, s[2:3], v9, v8, s[2:3]
	global_load_dwordx4 v[8:11], v[56:57], off offset:108
	s_waitcnt lgkmcnt(2)
	v_lshrrev_b32_e32 v59, 16, v26
	s_waitcnt lgkmcnt(1)
	v_lshrrev_b32_e32 v60, 16, v14
	v_lshrrev_b32_e32 v61, 16, v15
	s_waitcnt lgkmcnt(0)
	v_lshrrev_b32_e32 v63, 16, v12
	v_lshrrev_b32_e32 v64, 16, v13
	s_movk_i32 s2, 0x89
	v_lshrrev_b32_e32 v62, 16, v25
	s_waitcnt vmcnt(0)
	v_mul_f16_sdwa v65, v59, v8 dst_sel:DWORD dst_unused:UNUSED_PAD src0_sel:DWORD src1_sel:WORD_1
	v_fma_f16 v65, v26, v8, -v65
	v_mul_f16_sdwa v26, v26, v8 dst_sel:DWORD dst_unused:UNUSED_PAD src0_sel:DWORD src1_sel:WORD_1
	v_fma_f16 v26, v59, v8, v26
	v_mul_f16_sdwa v59, v60, v9 dst_sel:DWORD dst_unused:UNUSED_PAD src0_sel:DWORD src1_sel:WORD_1
	v_fma_f16 v66, v14, v9, -v59
	global_load_dword v59, v[56:57], off offset:124
	v_mul_f16_sdwa v14, v14, v9 dst_sel:DWORD dst_unused:UNUSED_PAD src0_sel:DWORD src1_sel:WORD_1
	v_fma_f16 v68, v60, v9, v14
	v_mul_f16_sdwa v14, v61, v10 dst_sel:DWORD dst_unused:UNUSED_PAD src0_sel:DWORD src1_sel:WORD_1
	v_fma_f16 v69, v15, v10, -v14
	v_mul_f16_sdwa v14, v15, v10 dst_sel:DWORD dst_unused:UNUSED_PAD src0_sel:DWORD src1_sel:WORD_1
	v_fma_f16 v70, v61, v10, v14
	v_mul_f16_sdwa v14, v63, v11 dst_sel:DWORD dst_unused:UNUSED_PAD src0_sel:DWORD src1_sel:WORD_1
	v_fma_f16 v71, v12, v11, -v14
	v_mul_f16_sdwa v12, v12, v11 dst_sel:DWORD dst_unused:UNUSED_PAD src0_sel:DWORD src1_sel:WORD_1
	v_fma_f16 v63, v63, v11, v12
	s_waitcnt vmcnt(0)
	v_mul_f16_sdwa v12, v64, v59 dst_sel:DWORD dst_unused:UNUSED_PAD src0_sel:DWORD src1_sel:WORD_1
	v_fma_f16 v72, v13, v59, -v12
	v_mul_f16_sdwa v12, v13, v59 dst_sel:DWORD dst_unused:UNUSED_PAD src0_sel:DWORD src1_sel:WORD_1
	v_fma_f16 v64, v64, v59, v12
	v_mul_lo_u16_sdwa v12, v38, s2 dst_sel:DWORD dst_unused:UNUSED_PAD src0_sel:BYTE_0 src1_sel:DWORD
	v_lshrrev_b16_e32 v56, 12, v12
	v_mul_lo_u16_e32 v12, 30, v56
	v_sub_u16_e32 v12, v38, v12
	v_and_b32_e32 v57, 0xff, v12
	v_mad_u64_u32 v[60:61], s[2:3], v57, 20, s[4:5]
	s_movk_i32 s2, 0x3aee
	s_mov_b32 s3, 0xbaee
	global_load_dwordx4 v[12:15], v[60:61], off offset:108
	s_waitcnt vmcnt(0)
	v_mul_f16_sdwa v73, v32, v12 dst_sel:DWORD dst_unused:UNUSED_PAD src0_sel:DWORD src1_sel:WORD_1
	global_load_dword v60, v[60:61], off offset:124
	v_fma_f16 v73, v22, v12, -v73
	v_mul_f16_sdwa v22, v22, v12 dst_sel:DWORD dst_unused:UNUSED_PAD src0_sel:DWORD src1_sel:WORD_1
	v_fma_f16 v32, v32, v12, v22
	v_mul_f16_sdwa v22, v31, v13 dst_sel:DWORD dst_unused:UNUSED_PAD src0_sel:DWORD src1_sel:WORD_1
	v_fma_f16 v74, v23, v13, -v22
	v_mul_f16_sdwa v22, v23, v13 dst_sel:DWORD dst_unused:UNUSED_PAD src0_sel:DWORD src1_sel:WORD_1
	v_fma_f16 v23, v31, v13, v22
	v_mul_f16_sdwa v22, v30, v14 dst_sel:DWORD dst_unused:UNUSED_PAD src0_sel:DWORD src1_sel:WORD_1
	;; [unrolled: 4-line block ×3, first 2 shown]
	v_fma_f16 v24, v19, v15, -v22
	v_mul_f16_sdwa v19, v19, v15 dst_sel:DWORD dst_unused:UNUSED_PAD src0_sel:DWORD src1_sel:WORD_1
	v_fma_f16 v33, v33, v15, v19
	v_sub_f16_e32 v22, v68, v63
	s_waitcnt vmcnt(0)
	s_barrier
	v_mul_f16_sdwa v19, v28, v60 dst_sel:DWORD dst_unused:UNUSED_PAD src0_sel:DWORD src1_sel:WORD_1
	v_fma_f16 v61, v20, v60, -v19
	v_mul_f16_sdwa v19, v20, v60 dst_sel:DWORD dst_unused:UNUSED_PAD src0_sel:DWORD src1_sel:WORD_1
	v_add_f16_e32 v20, v66, v71
	v_fma_f16 v20, v20, -0.5, v25
	v_fma_f16 v28, v28, v60, v19
	v_add_f16_e32 v19, v25, v66
	v_fma_f16 v25, v22, s2, v20
	v_fma_f16 v20, v22, s3, v20
	v_add_f16_e32 v22, v62, v68
	v_add_f16_e32 v22, v22, v63
	;; [unrolled: 1-line block ×3, first 2 shown]
	v_fma_f16 v62, v63, -0.5, v62
	v_sub_f16_e32 v63, v66, v71
	v_add_f16_e32 v68, v69, v72
	v_fma_f16 v66, v63, s3, v62
	v_fma_f16 v62, v63, s2, v62
	v_add_f16_e32 v63, v65, v69
	v_fma_f16 v65, v68, -0.5, v65
	v_sub_f16_e32 v68, v70, v64
	v_add_f16_e32 v19, v19, v71
	v_fma_f16 v71, v68, s2, v65
	v_fma_f16 v65, v68, s3, v65
	v_add_f16_e32 v68, v26, v70
	v_add_f16_e32 v68, v68, v64
	;; [unrolled: 1-line block ×3, first 2 shown]
	v_fma_f16 v26, v64, -0.5, v26
	v_sub_f16_e32 v64, v69, v72
	v_fma_f16 v69, v64, s3, v26
	v_fma_f16 v26, v64, s2, v26
	v_mul_f16_e32 v75, -0.5, v65
	v_fma_f16 v75, v26, s2, v75
	v_add_f16_e32 v63, v63, v72
	v_add_f16_e32 v76, v20, v75
	v_mul_f16_e32 v26, -0.5, v26
	v_sub_f16_e32 v75, v20, v75
	v_add_f16_e32 v20, v74, v24
	v_add_f16_e32 v70, v19, v63
	;; [unrolled: 1-line block ×3, first 2 shown]
	v_fma_f16 v26, v65, s3, v26
	v_sub_f16_e32 v79, v19, v63
	v_sub_f16_e32 v68, v22, v68
	v_add_f16_e32 v19, v21, v74
	v_fma_f16 v21, v20, -0.5, v21
	v_sub_f16_e32 v22, v23, v33
	v_add_f16_e32 v78, v62, v26
	v_sub_f16_e32 v62, v62, v26
	v_fma_f16 v20, v22, s2, v21
	v_fma_f16 v21, v22, s3, v21
	v_add_f16_e32 v22, v29, v23
	v_add_f16_e32 v23, v23, v33
	;; [unrolled: 1-line block ×3, first 2 shown]
	v_fma_f16 v23, v23, -0.5, v29
	v_fma_f16 v26, v26, -0.5, v73
	v_sub_f16_e32 v29, v30, v28
	v_add_f16_e32 v22, v22, v33
	v_fma_f16 v33, v29, s2, v26
	v_fma_f16 v29, v29, s3, v26
	v_add_f16_e32 v26, v32, v30
	v_mul_f16_e32 v64, 0x3aee, v69
	v_add_f16_e32 v26, v26, v28
	v_add_f16_e32 v28, v30, v28
	v_fma_f16 v64, v71, 0.5, v64
	v_fma_f16 v28, v28, -0.5, v32
	v_sub_f16_e32 v30, v31, v61
	v_add_f16_e32 v72, v25, v64
	v_sub_f16_e32 v80, v25, v64
	v_sub_f16_e32 v25, v74, v24
	v_fma_f16 v32, v30, s3, v28
	v_add_f16_e32 v19, v19, v24
	v_fma_f16 v24, v25, s3, v23
	v_fma_f16 v25, v25, s2, v23
	v_add_f16_e32 v23, v73, v31
	v_fma_f16 v28, v30, s2, v28
	v_mul_f16_e32 v30, 0x3aee, v32
	v_mul_f16_e32 v31, -0.5, v29
	v_fma_f16 v30, v33, 0.5, v30
	v_fma_f16 v31, v28, s2, v31
	v_mul_f16_e32 v33, 0xbaee, v33
	v_mul_f16_e32 v28, -0.5, v28
	v_mul_f16_e32 v71, 0xbaee, v71
	v_add_f16_e32 v23, v23, v61
	v_fma_f16 v32, v32, 0.5, v33
	v_fma_f16 v33, v29, s3, v28
	v_cmp_lt_u16_e64 s[2:3], 29, v48
	v_mov_b32_e32 v61, 0xb4
	v_fma_f16 v69, v69, 0.5, v71
	v_cndmask_b32_e64 v61, 0, v61, s[2:3]
	v_add_f16_e32 v71, v66, v69
	v_add_u32_e32 v61, v67, v61
	v_lshl_add_u32 v61, v61, 2, v50
	v_pack_b32_f16 v67, v70, v77
	v_pack_b32_f16 v70, v72, v71
	v_sub_f16_e32 v69, v66, v69
	ds_write2_b32 v61, v67, v70 offset1:30
	v_pack_b32_f16 v67, v76, v78
	v_pack_b32_f16 v68, v79, v68
	v_sub_f16_e32 v28, v19, v23
	v_sub_f16_e32 v29, v20, v30
	;; [unrolled: 1-line block ×6, first 2 shown]
	ds_write2_b32 v61, v67, v68 offset0:60 offset1:90
	v_pack_b32_f16 v67, v80, v69
	v_pack_b32_f16 v62, v75, v62
	ds_write2_b32 v61, v67, v62 offset0:120 offset1:150
	s_and_saveexec_b64 s[2:3], vcc
	s_cbranch_execz .LBB0_11
; %bb.10:
	v_add_f16_e32 v19, v19, v23
	v_mul_u32_u24_e32 v23, 0xb4, v56
	v_add_f16_e32 v24, v24, v32
	v_add_f16_e32 v22, v22, v26
	;; [unrolled: 1-line block ×3, first 2 shown]
	v_add_u32_e32 v23, v23, v57
	v_add_f16_e32 v25, v25, v33
	v_add_f16_e32 v21, v21, v31
	v_lshl_add_u32 v23, v23, 2, v50
	v_pack_b32_f16 v19, v19, v22
	v_pack_b32_f16 v20, v20, v24
	s_mov_b32 s14, 0x5040100
	ds_write2_b32 v23, v19, v20 offset1:30
	v_pack_b32_f16 v19, v21, v25
	v_perm_b32 v20, v65, v28, s14
	ds_write2_b32 v23, v19, v20 offset0:60 offset1:90
	v_perm_b32 v19, v66, v29, s14
	v_perm_b32 v20, v64, v63, s14
	ds_write2_b32 v23, v19, v20 offset0:120 offset1:150
.LBB0_11:
	s_or_b64 exec, exec, s[2:3]
	v_add_u32_e32 v19, 0x400, v39
	v_add_u32_e32 v21, 0x200, v39
	s_waitcnt lgkmcnt(0)
	s_barrier
	ds_read2_b32 v[32:33], v39 offset1:54
	ds_read2_b32 v[30:31], v39 offset0:108 offset1:180
	ds_read2_b32 v[24:25], v19 offset0:104 offset1:158
	;; [unrolled: 1-line block ×3, first 2 shown]
	ds_read_b32 v67, v39 offset:1872
	s_and_saveexec_b64 s[2:3], s[0:1]
	s_cbranch_execz .LBB0_13
; %bb.12:
	ds_read2_b32 v[28:29], v21 offset0:34 offset1:214
	ds_read_b32 v63, v39 offset:2088
	s_waitcnt lgkmcnt(1)
	v_lshrrev_b32_e32 v65, 16, v28
	v_lshrrev_b32_e32 v66, 16, v29
	s_waitcnt lgkmcnt(0)
	v_lshrrev_b32_e32 v64, 16, v63
.LBB0_13:
	s_or_b64 exec, exec, s[2:3]
	v_lshlrev_b32_e32 v21, 3, v48
	global_load_dwordx2 v[21:22], v21, s[4:5] offset:708
	s_waitcnt lgkmcnt(3)
	v_lshrrev_b32_e32 v23, 16, v31
	v_lshl_add_u32 v62, v27, 2, v34
	s_waitcnt lgkmcnt(2)
	v_lshrrev_b32_e32 v26, 16, v24
	s_waitcnt lgkmcnt(1)
	v_lshrrev_b32_e32 v70, 16, v19
	v_lshrrev_b32_e32 v71, 16, v25
	;; [unrolled: 1-line block ×3, first 2 shown]
	s_waitcnt lgkmcnt(0)
	v_lshrrev_b32_e32 v74, 16, v67
	s_movk_i32 s2, 0xffee
	v_lshrrev_b32_e32 v68, 16, v32
	v_lshrrev_b32_e32 v69, 16, v33
	;; [unrolled: 1-line block ×3, first 2 shown]
	s_waitcnt vmcnt(0)
	v_mul_f16_sdwa v27, v23, v21 dst_sel:DWORD dst_unused:UNUSED_PAD src0_sel:DWORD src1_sel:WORD_1
	v_fma_f16 v27, v31, v21, -v27
	v_mul_f16_sdwa v31, v31, v21 dst_sel:DWORD dst_unused:UNUSED_PAD src0_sel:DWORD src1_sel:WORD_1
	v_fma_f16 v31, v23, v21, v31
	v_mul_f16_sdwa v23, v26, v22 dst_sel:DWORD dst_unused:UNUSED_PAD src0_sel:DWORD src1_sel:WORD_1
	v_fma_f16 v75, v24, v22, -v23
	v_mul_f16_sdwa v23, v24, v22 dst_sel:DWORD dst_unused:UNUSED_PAD src0_sel:DWORD src1_sel:WORD_1
	v_fma_f16 v76, v26, v22, v23
	v_lshlrev_b32_e32 v23, 3, v38
	global_load_dwordx2 v[23:24], v23, s[4:5] offset:708
	s_waitcnt vmcnt(0)
	v_mul_f16_sdwa v26, v70, v23 dst_sel:DWORD dst_unused:UNUSED_PAD src0_sel:DWORD src1_sel:WORD_1
	v_fma_f16 v38, v19, v23, -v26
	v_mul_f16_sdwa v19, v19, v23 dst_sel:DWORD dst_unused:UNUSED_PAD src0_sel:DWORD src1_sel:WORD_1
	v_fma_f16 v70, v70, v23, v19
	v_mul_f16_sdwa v19, v71, v24 dst_sel:DWORD dst_unused:UNUSED_PAD src0_sel:DWORD src1_sel:WORD_1
	v_fma_f16 v77, v25, v24, -v19
	v_mul_f16_sdwa v19, v25, v24 dst_sel:DWORD dst_unused:UNUSED_PAD src0_sel:DWORD src1_sel:WORD_1
	v_fma_f16 v71, v71, v24, v19
	v_lshlrev_b32_e32 v19, 3, v37
	global_load_dwordx2 v[25:26], v19, s[4:5] offset:708
	s_waitcnt vmcnt(0)
	v_mul_f16_sdwa v19, v73, v25 dst_sel:DWORD dst_unused:UNUSED_PAD src0_sel:DWORD src1_sel:WORD_1
	v_fma_f16 v37, v20, v25, -v19
	v_mul_f16_sdwa v19, v20, v25 dst_sel:DWORD dst_unused:UNUSED_PAD src0_sel:DWORD src1_sel:WORD_1
	v_fma_f16 v73, v73, v25, v19
	v_mul_f16_sdwa v19, v74, v26 dst_sel:DWORD dst_unused:UNUSED_PAD src0_sel:DWORD src1_sel:WORD_1
	v_fma_f16 v78, v67, v26, -v19
	v_mul_f16_sdwa v19, v67, v26 dst_sel:DWORD dst_unused:UNUSED_PAD src0_sel:DWORD src1_sel:WORD_1
	v_fma_f16 v67, v74, v26, v19
	v_add_co_u32_e64 v19, s[2:3], s2, v48
	v_addc_co_u32_e64 v20, s[2:3], 0, -1, s[2:3]
	v_cndmask_b32_e64 v20, v20, v36, s[0:1]
	v_cndmask_b32_e64 v19, v19, v35, s[0:1]
	v_lshlrev_b64 v[19:20], 3, v[19:20]
	v_mov_b32_e32 v35, s5
	v_add_co_u32_e64 v19, s[2:3], s4, v19
	v_addc_co_u32_e64 v20, s[2:3], v35, v20, s[2:3]
	global_load_dwordx2 v[19:20], v[19:20], off offset:708
	s_movk_i32 s2, 0x3aee
	s_mov_b32 s3, 0xbaee
	s_waitcnt vmcnt(0)
	v_mul_f16_sdwa v35, v66, v19 dst_sel:DWORD dst_unused:UNUSED_PAD src0_sel:DWORD src1_sel:WORD_1
	v_mul_f16_sdwa v36, v64, v20 dst_sel:DWORD dst_unused:UNUSED_PAD src0_sel:DWORD src1_sel:WORD_1
	v_fma_f16 v35, v29, v19, -v35
	v_mul_f16_sdwa v29, v29, v19 dst_sel:DWORD dst_unused:UNUSED_PAD src0_sel:DWORD src1_sel:WORD_1
	v_fma_f16 v36, v63, v20, -v36
	v_mul_f16_sdwa v63, v63, v20 dst_sel:DWORD dst_unused:UNUSED_PAD src0_sel:DWORD src1_sel:WORD_1
	v_fma_f16 v29, v66, v19, v29
	v_fma_f16 v66, v64, v20, v63
	v_add_f16_e32 v63, v32, v27
	v_add_f16_e32 v74, v63, v75
	;; [unrolled: 1-line block ×3, first 2 shown]
	v_fma_f16 v32, v63, -0.5, v32
	v_sub_f16_e32 v63, v31, v76
	v_fma_f16 v79, v63, s2, v32
	v_fma_f16 v32, v63, s3, v32
	v_add_f16_e32 v63, v68, v31
	v_add_f16_e32 v31, v31, v76
	v_fma_f16 v31, v31, -0.5, v68
	v_sub_f16_e32 v27, v27, v75
	v_fma_f16 v68, v27, s3, v31
	v_fma_f16 v31, v27, s2, v31
	v_add_f16_e32 v27, v33, v38
	v_add_f16_e32 v75, v27, v77
	;; [unrolled: 1-line block ×3, first 2 shown]
	v_fma_f16 v27, v27, -0.5, v33
	v_sub_f16_e32 v33, v70, v71
	v_add_f16_e32 v80, v63, v76
	v_fma_f16 v76, v33, s2, v27
	v_fma_f16 v33, v33, s3, v27
	v_add_f16_e32 v27, v69, v70
	v_add_f16_e32 v81, v27, v71
	v_add_f16_e32 v27, v70, v71
	v_fma_f16 v27, v27, -0.5, v69
	v_sub_f16_e32 v38, v38, v77
	v_fma_f16 v69, v38, s3, v27
	v_fma_f16 v38, v38, s2, v27
	v_add_f16_e32 v27, v30, v37
	v_add_f16_e32 v70, v27, v78
	;; [unrolled: 1-line block ×3, first 2 shown]
	v_fma_f16 v27, v27, -0.5, v30
	v_sub_f16_e32 v30, v73, v67
	v_fma_f16 v71, v30, s2, v27
	v_fma_f16 v30, v30, s3, v27
	v_add_f16_e32 v27, v72, v73
	v_add_f16_e32 v77, v27, v67
	;; [unrolled: 1-line block ×4, first 2 shown]
	v_fma_f16 v27, v27, -0.5, v72
	v_sub_f16_e32 v37, v37, v78
	v_fma_f16 v63, v63, -0.5, v28
	v_sub_f16_e32 v64, v29, v66
	v_fma_f16 v67, v37, s3, v27
	v_fma_f16 v37, v37, s2, v27
	v_add_f16_e32 v27, v28, v35
	v_fma_f16 v28, v64, s2, v63
	v_fma_f16 v63, v64, s3, v63
	v_add_f16_e32 v64, v65, v29
	v_add_f16_e32 v29, v29, v66
	v_fma_f16 v29, v29, -0.5, v65
	v_sub_f16_e32 v35, v35, v36
	v_pack_b32_f16 v31, v32, v31
	v_add_f16_e32 v64, v64, v66
	v_fma_f16 v65, v35, s3, v29
	v_fma_f16 v66, v35, s2, v29
	v_pack_b32_f16 v29, v74, v80
	v_pack_b32_f16 v35, v79, v68
	ds_write_b32 v39, v31 offset:1440
	v_pack_b32_f16 v31, v75, v81
	ds_write_b32 v39, v35 offset:720
	ds_write2_b32 v39, v29, v31 offset1:54
	v_pack_b32_f16 v29, v76, v69
	ds_write_b32 v39, v29 offset:936
	v_pack_b32_f16 v29, v33, v38
	ds_write_b32 v39, v29 offset:1656
	v_pack_b32_f16 v29, v70, v77
	v_add_f16_e32 v27, v27, v36
	ds_write_b32 v39, v29 offset:432
	v_pack_b32_f16 v29, v71, v67
	v_pack_b32_f16 v30, v30, v37
	v_add_u32_e32 v31, 0x400, v62
	ds_write2_b32 v31, v29, v30 offset0:32 offset1:212
	s_and_saveexec_b64 s[2:3], s[0:1]
	s_cbranch_execz .LBB0_15
; %bb.14:
	s_mov_b32 s4, 0x5040100
	v_perm_b32 v29, v64, v27, s4
	v_perm_b32 v30, v65, v28, s4
	v_add_u32_e32 v31, 0x200, v39
	ds_write2_b32 v31, v29, v30 offset0:34 offset1:214
	v_perm_b32 v29, v66, v63, s4
	ds_write_b32 v39, v29 offset:2088
.LBB0_15:
	s_or_b64 exec, exec, s[2:3]
	s_waitcnt lgkmcnt(0)
	s_barrier
	global_load_dword v32, v[16:17], off offset:2160
	ds_read2_b32 v[29:30], v39 offset1:54
	s_add_u32 s2, s12, 0x870
	s_addc_u32 s3, s13, 0
	global_load_dword v38, v34, s[2:3] offset:1440
	s_waitcnt lgkmcnt(0)
	v_lshrrev_b32_e32 v31, 16, v29
	s_waitcnt vmcnt(1)
	v_mul_f16_sdwa v33, v31, v32 dst_sel:DWORD dst_unused:UNUSED_PAD src0_sel:DWORD src1_sel:WORD_1
	v_fma_f16 v33, v29, v32, -v33
	v_mul_f16_sdwa v29, v29, v32 dst_sel:DWORD dst_unused:UNUSED_PAD src0_sel:DWORD src1_sel:WORD_1
	v_fma_f16 v29, v31, v32, v29
	v_pack_b32_f16 v35, v33, v29
	global_load_dword v33, v34, s[2:3] offset:720
	ds_read2_b32 v[31:32], v39 offset0:108 offset1:180
	s_waitcnt lgkmcnt(0)
	v_lshrrev_b32_e32 v29, 16, v32
	s_waitcnt vmcnt(0)
	v_mul_f16_sdwa v36, v29, v33 dst_sel:DWORD dst_unused:UNUSED_PAD src0_sel:DWORD src1_sel:WORD_1
	v_fma_f16 v36, v32, v33, -v36
	v_mul_f16_sdwa v32, v32, v33 dst_sel:DWORD dst_unused:UNUSED_PAD src0_sel:DWORD src1_sel:WORD_1
	v_fma_f16 v29, v29, v33, v32
	v_pack_b32_f16 v37, v36, v29
	v_add_u32_e32 v29, 0x400, v39
	ds_read2_b32 v[32:33], v29 offset0:104 offset1:158
	s_waitcnt lgkmcnt(0)
	v_lshrrev_b32_e32 v36, 16, v32
	v_mul_f16_sdwa v67, v36, v38 dst_sel:DWORD dst_unused:UNUSED_PAD src0_sel:DWORD src1_sel:WORD_1
	v_fma_f16 v67, v32, v38, -v67
	v_mul_f16_sdwa v32, v32, v38 dst_sel:DWORD dst_unused:UNUSED_PAD src0_sel:DWORD src1_sel:WORD_1
	v_fma_f16 v32, v36, v38, v32
	global_load_dword v38, v34, s[2:3] offset:216
	v_lshrrev_b32_e32 v36, 16, v30
	v_pack_b32_f16 v32, v67, v32
	s_waitcnt vmcnt(0)
	v_mul_f16_sdwa v67, v36, v38 dst_sel:DWORD dst_unused:UNUSED_PAD src0_sel:DWORD src1_sel:WORD_1
	v_fma_f16 v67, v30, v38, -v67
	v_mul_f16_sdwa v30, v30, v38 dst_sel:DWORD dst_unused:UNUSED_PAD src0_sel:DWORD src1_sel:WORD_1
	v_fma_f16 v30, v36, v38, v30
	v_pack_b32_f16 v30, v67, v30
	global_load_dword v67, v34, s[2:3] offset:936
	ds_write2_b32 v39, v35, v30 offset1:54
	v_add_u32_e32 v30, 0x200, v39
	ds_read2_b32 v[35:36], v30 offset0:106 offset1:160
	s_waitcnt lgkmcnt(0)
	v_lshrrev_b32_e32 v38, 16, v35
	s_waitcnt vmcnt(0)
	v_mul_f16_sdwa v68, v38, v67 dst_sel:DWORD dst_unused:UNUSED_PAD src0_sel:DWORD src1_sel:WORD_1
	v_fma_f16 v68, v35, v67, -v68
	v_mul_f16_sdwa v35, v35, v67 dst_sel:DWORD dst_unused:UNUSED_PAD src0_sel:DWORD src1_sel:WORD_1
	v_fma_f16 v35, v38, v67, v35
	global_load_dword v67, v34, s[2:3] offset:1656
	v_lshrrev_b32_e32 v38, 16, v33
	v_pack_b32_f16 v35, v68, v35
	s_waitcnt vmcnt(0)
	v_mul_f16_sdwa v68, v38, v67 dst_sel:DWORD dst_unused:UNUSED_PAD src0_sel:DWORD src1_sel:WORD_1
	v_fma_f16 v68, v33, v67, -v68
	v_mul_f16_sdwa v33, v33, v67 dst_sel:DWORD dst_unused:UNUSED_PAD src0_sel:DWORD src1_sel:WORD_1
	v_fma_f16 v33, v38, v67, v33
	v_pack_b32_f16 v33, v68, v33
	ds_write2_b32 v29, v32, v33 offset0:104 offset1:158
	global_load_dword v33, v34, s[2:3] offset:432
	v_lshrrev_b32_e32 v32, 16, v31
	s_waitcnt vmcnt(0)
	v_mul_f16_sdwa v38, v32, v33 dst_sel:DWORD dst_unused:UNUSED_PAD src0_sel:DWORD src1_sel:WORD_1
	v_fma_f16 v38, v31, v33, -v38
	v_mul_f16_sdwa v31, v31, v33 dst_sel:DWORD dst_unused:UNUSED_PAD src0_sel:DWORD src1_sel:WORD_1
	v_fma_f16 v31, v32, v33, v31
	global_load_dword v32, v34, s[2:3] offset:1152
	v_pack_b32_f16 v31, v38, v31
	ds_write2_b32 v39, v31, v37 offset0:108 offset1:180
	v_lshrrev_b32_e32 v31, 16, v36
	s_waitcnt vmcnt(0)
	v_mul_f16_sdwa v33, v31, v32 dst_sel:DWORD dst_unused:UNUSED_PAD src0_sel:DWORD src1_sel:WORD_1
	v_fma_f16 v33, v36, v32, -v33
	v_mul_f16_sdwa v36, v36, v32 dst_sel:DWORD dst_unused:UNUSED_PAD src0_sel:DWORD src1_sel:WORD_1
	v_fma_f16 v31, v31, v32, v36
	v_pack_b32_f16 v31, v33, v31
	global_load_dword v33, v34, s[2:3] offset:1872
	ds_write2_b32 v30, v35, v31 offset0:106 offset1:160
	ds_read_b32 v31, v39 offset:1872
	s_waitcnt lgkmcnt(0)
	v_lshrrev_b32_e32 v32, 16, v31
	s_waitcnt vmcnt(0)
	v_mul_f16_sdwa v35, v32, v33 dst_sel:DWORD dst_unused:UNUSED_PAD src0_sel:DWORD src1_sel:WORD_1
	v_fma_f16 v35, v31, v33, -v35
	v_mul_f16_sdwa v31, v31, v33 dst_sel:DWORD dst_unused:UNUSED_PAD src0_sel:DWORD src1_sel:WORD_1
	v_fma_f16 v31, v32, v33, v31
	v_pack_b32_f16 v31, v35, v31
	ds_write_b32 v39, v31 offset:1872
	s_and_saveexec_b64 s[4:5], s[0:1]
	s_cbranch_execz .LBB0_17
; %bb.16:
	v_mov_b32_e32 v32, s3
	v_add_co_u32_e64 v31, s[2:3], s2, v34
	v_addc_co_u32_e64 v32, s[2:3], 0, v32, s[2:3]
	global_load_dword v33, v[31:32], off offset:648
	global_load_dword v34, v[31:32], off offset:1368
	global_load_dword v35, v[31:32], off offset:2088
	ds_read2_b32 v[31:32], v30 offset0:34 offset1:214
	ds_read_b32 v36, v39 offset:2088
	s_waitcnt lgkmcnt(1)
	v_lshrrev_b32_e32 v37, 16, v31
	v_lshrrev_b32_e32 v38, 16, v32
	s_waitcnt lgkmcnt(0)
	v_lshrrev_b32_e32 v67, 16, v36
	s_waitcnt vmcnt(2)
	v_mul_f16_sdwa v68, v37, v33 dst_sel:DWORD dst_unused:UNUSED_PAD src0_sel:DWORD src1_sel:WORD_1
	v_mul_f16_sdwa v69, v31, v33 dst_sel:DWORD dst_unused:UNUSED_PAD src0_sel:DWORD src1_sel:WORD_1
	s_waitcnt vmcnt(1)
	v_mul_f16_sdwa v70, v38, v34 dst_sel:DWORD dst_unused:UNUSED_PAD src0_sel:DWORD src1_sel:WORD_1
	v_mul_f16_sdwa v71, v32, v34 dst_sel:DWORD dst_unused:UNUSED_PAD src0_sel:DWORD src1_sel:WORD_1
	;; [unrolled: 3-line block ×3, first 2 shown]
	v_fma_f16 v31, v31, v33, -v68
	v_fma_f16 v33, v37, v33, v69
	v_fma_f16 v32, v32, v34, -v70
	v_fma_f16 v34, v38, v34, v71
	;; [unrolled: 2-line block ×3, first 2 shown]
	v_pack_b32_f16 v31, v31, v33
	v_pack_b32_f16 v32, v32, v34
	;; [unrolled: 1-line block ×3, first 2 shown]
	ds_write2_b32 v30, v31, v32 offset0:34 offset1:214
	ds_write_b32 v39, v33 offset:2088
.LBB0_17:
	s_or_b64 exec, exec, s[4:5]
	s_waitcnt lgkmcnt(0)
	s_barrier
	ds_read2_b32 v[35:36], v39 offset1:54
	ds_read2_b32 v[31:32], v39 offset0:108 offset1:180
	ds_read2_b32 v[37:38], v29 offset0:104 offset1:158
	;; [unrolled: 1-line block ×3, first 2 shown]
	ds_read_b32 v69, v39 offset:1872
	s_and_saveexec_b64 s[2:3], s[0:1]
	s_cbranch_execz .LBB0_19
; %bb.18:
	v_add_u32_e32 v27, 0x200, v39
	ds_read2_b32 v[27:28], v27 offset0:34 offset1:214
	ds_read_b32 v63, v39 offset:2088
	s_waitcnt lgkmcnt(1)
	v_lshrrev_b32_e32 v64, 16, v27
	v_lshrrev_b32_e32 v65, 16, v28
	s_waitcnt lgkmcnt(0)
	v_lshrrev_b32_e32 v66, 16, v63
.LBB0_19:
	s_or_b64 exec, exec, s[2:3]
	v_add_f16_e32 v29, v28, v63
	v_fma_f16 v30, v29, -0.5, v27
	v_sub_f16_e32 v67, v65, v66
	s_mov_b32 s2, 0xbaee
	s_movk_i32 s3, 0x3aee
	v_fma_f16 v29, v67, s2, v30
	v_fma_f16 v30, v67, s3, v30
	v_add_f16_e32 v67, v65, v66
	v_fma_f16 v68, v67, -0.5, v64
	v_sub_f16_e32 v73, v28, v63
	s_waitcnt lgkmcnt(3)
	v_pk_add_f16 v70, v35, v32
	v_fma_f16 v67, v73, s3, v68
	v_fma_f16 v68, v73, s2, v68
	s_waitcnt lgkmcnt(2)
	v_pk_add_f16 v73, v32, v37
	v_pk_add_f16 v32, v32, v37 neg_lo:[0,1] neg_hi:[0,1]
	v_pk_fma_f16 v35, v73, 0.5, v35 op_sel_hi:[1,0,1] neg_lo:[1,0,0] neg_hi:[1,0,0]
	v_pk_mul_f16 v32, v32, s3 op_sel_hi:[1,0]
	v_pk_add_f16 v70, v70, v37
	v_pk_add_f16 v37, v35, v32 op_sel:[0,1] op_sel_hi:[1,0] neg_lo:[0,1] neg_hi:[0,1]
	v_pk_add_f16 v32, v35, v32 op_sel:[0,1] op_sel_hi:[1,0]
	s_mov_b32 s2, 0xffff
	v_bfi_b32 v35, s2, v37, v32
	s_waitcnt lgkmcnt(1)
	v_pk_add_f16 v71, v36, v33
	s_waitcnt lgkmcnt(0)
	s_barrier
	ds_write2_b32 v51, v70, v35 offset1:1
	v_pk_add_f16 v35, v33, v38
	v_pk_add_f16 v33, v33, v38 neg_lo:[0,1] neg_hi:[0,1]
	v_pk_fma_f16 v35, v35, 0.5, v36 op_sel_hi:[1,0,1] neg_lo:[1,0,0] neg_hi:[1,0,0]
	v_pk_mul_f16 v33, v33, s3 op_sel_hi:[1,0]
	v_bfi_b32 v32, s2, v32, v37
	v_pk_add_f16 v36, v35, v33 op_sel:[0,1] op_sel_hi:[1,0] neg_lo:[0,1] neg_hi:[0,1]
	v_pk_add_f16 v33, v35, v33 op_sel:[0,1] op_sel_hi:[1,0]
	ds_write_b32 v51, v32 offset:8
	v_pk_add_f16 v32, v71, v38
	v_bfi_b32 v35, s2, v36, v33
	ds_write2_b32 v52, v32, v35 offset1:1
	v_bfi_b32 v32, s2, v33, v36
	v_pk_add_f16 v33, v34, v69
	v_pk_add_f16 v72, v31, v34
	v_pk_fma_f16 v31, v33, 0.5, v31 op_sel_hi:[1,0,1] neg_lo:[1,0,0] neg_hi:[1,0,0]
	v_pk_add_f16 v33, v34, v69 neg_lo:[0,1] neg_hi:[0,1]
	v_pk_mul_f16 v33, v33, s3 op_sel_hi:[1,0]
	v_pk_add_f16 v34, v31, v33 op_sel:[0,1] op_sel_hi:[1,0] neg_lo:[0,1] neg_hi:[0,1]
	v_pk_add_f16 v31, v31, v33 op_sel:[0,1] op_sel_hi:[1,0]
	ds_write_b32 v52, v32 offset:8
	v_pk_add_f16 v32, v72, v69
	v_bfi_b32 v33, s2, v34, v31
	v_bfi_b32 v31, s2, v31, v34
	ds_write2_b32 v53, v32, v33 offset1:1
	ds_write_b32 v53, v31 offset:8
	s_and_saveexec_b64 s[2:3], s[0:1]
	s_cbranch_execz .LBB0_21
; %bb.20:
	v_add_f16_e32 v31, v64, v65
	v_add_f16_e32 v27, v27, v28
	;; [unrolled: 1-line block ×4, first 2 shown]
	s_mov_b32 s4, 0x5040100
	v_lshl_add_u32 v28, v54, 2, v50
	v_perm_b32 v32, v67, v29, s4
	v_pack_b32_f16 v27, v27, v31
	ds_write2_b32 v28, v27, v32 offset1:1
	v_perm_b32 v27, v68, v30, s4
	ds_write_b32 v28, v27 offset:8
.LBB0_21:
	s_or_b64 exec, exec, s[2:3]
	s_waitcnt lgkmcnt(0)
	s_barrier
	ds_read2_b32 v[27:28], v39 offset1:54
	ds_read2_b32 v[33:34], v39 offset0:108 offset1:162
	v_add_u32_e32 v32, 0x200, v39
	ds_read2_b32 v[35:36], v32 offset0:88 offset1:142
	v_add_u32_e32 v31, 0x400, v39
	s_waitcnt lgkmcnt(2)
	v_lshrrev_b32_e32 v54, 16, v28
	v_mul_f16_sdwa v73, v0, v54 dst_sel:DWORD dst_unused:UNUSED_PAD src0_sel:WORD_1 src1_sel:DWORD
	s_waitcnt lgkmcnt(1)
	v_lshrrev_b32_e32 v63, 16, v33
	v_fma_f16 v73, v0, v28, v73
	v_mul_f16_sdwa v28, v0, v28 dst_sel:DWORD dst_unused:UNUSED_PAD src0_sel:WORD_1 src1_sel:DWORD
	v_fma_f16 v0, v0, v54, -v28
	v_mul_f16_sdwa v28, v1, v63 dst_sel:DWORD dst_unused:UNUSED_PAD src0_sel:WORD_1 src1_sel:DWORD
	v_lshrrev_b32_e32 v64, 16, v34
	v_fma_f16 v28, v1, v33, v28
	v_mul_f16_sdwa v33, v1, v33 dst_sel:DWORD dst_unused:UNUSED_PAD src0_sel:WORD_1 src1_sel:DWORD
	ds_read2_b32 v[37:38], v31 offset0:68 offset1:122
	v_fma_f16 v1, v1, v63, -v33
	v_mul_f16_sdwa v33, v2, v64 dst_sel:DWORD dst_unused:UNUSED_PAD src0_sel:WORD_1 src1_sel:DWORD
	s_waitcnt lgkmcnt(1)
	v_lshrrev_b32_e32 v65, 16, v35
	v_fma_f16 v33, v2, v34, v33
	v_mul_f16_sdwa v34, v2, v34 dst_sel:DWORD dst_unused:UNUSED_PAD src0_sel:WORD_1 src1_sel:DWORD
	v_fma_f16 v2, v2, v64, -v34
	v_mul_f16_sdwa v34, v3, v65 dst_sel:DWORD dst_unused:UNUSED_PAD src0_sel:WORD_1 src1_sel:DWORD
	v_lshrrev_b32_e32 v66, 16, v36
	v_fma_f16 v34, v3, v35, v34
	v_mul_f16_sdwa v35, v3, v35 dst_sel:DWORD dst_unused:UNUSED_PAD src0_sel:WORD_1 src1_sel:DWORD
	ds_read2_b32 v[51:52], v31 offset0:176 offset1:230
	v_fma_f16 v3, v3, v65, -v35
	v_mul_f16_sdwa v35, v4, v66 dst_sel:DWORD dst_unused:UNUSED_PAD src0_sel:WORD_1 src1_sel:DWORD
	s_waitcnt lgkmcnt(1)
	v_lshrrev_b32_e32 v69, 16, v37
	v_fma_f16 v35, v4, v36, v35
	v_mul_f16_sdwa v36, v4, v36 dst_sel:DWORD dst_unused:UNUSED_PAD src0_sel:WORD_1 src1_sel:DWORD
	v_fma_f16 v4, v4, v66, -v36
	v_mul_f16_sdwa v36, v5, v69 dst_sel:DWORD dst_unused:UNUSED_PAD src0_sel:WORD_1 src1_sel:DWORD
	v_lshrrev_b32_e32 v70, 16, v38
	v_fma_f16 v36, v5, v37, v36
	v_mul_f16_sdwa v37, v5, v37 dst_sel:DWORD dst_unused:UNUSED_PAD src0_sel:WORD_1 src1_sel:DWORD
	v_fma_f16 v5, v5, v69, -v37
	v_mul_f16_sdwa v37, v6, v70 dst_sel:DWORD dst_unused:UNUSED_PAD src0_sel:WORD_1 src1_sel:DWORD
	s_waitcnt lgkmcnt(0)
	v_lshrrev_b32_e32 v71, 16, v51
	v_fma_f16 v37, v6, v38, v37
	v_mul_f16_sdwa v38, v6, v38 dst_sel:DWORD dst_unused:UNUSED_PAD src0_sel:WORD_1 src1_sel:DWORD
	v_fma_f16 v6, v6, v70, -v38
	v_mul_f16_sdwa v38, v7, v71 dst_sel:DWORD dst_unused:UNUSED_PAD src0_sel:WORD_1 src1_sel:DWORD
	v_lshrrev_b32_e32 v72, 16, v52
	v_fma_f16 v38, v7, v51, v38
	v_mul_f16_sdwa v51, v7, v51 dst_sel:DWORD dst_unused:UNUSED_PAD src0_sel:WORD_1 src1_sel:DWORD
	v_fma_f16 v7, v7, v71, -v51
	v_mul_f16_sdwa v51, v55, v72 dst_sel:DWORD dst_unused:UNUSED_PAD src0_sel:WORD_1 src1_sel:DWORD
	v_fma_f16 v51, v55, v52, v51
	v_mul_f16_sdwa v52, v55, v52 dst_sel:DWORD dst_unused:UNUSED_PAD src0_sel:WORD_1 src1_sel:DWORD
	v_fma_f16 v52, v55, v72, -v52
	v_add_f16_e32 v55, v34, v36
	v_fma_f16 v55, v55, -0.5, v27
	v_sub_f16_e32 v63, v1, v7
	s_mov_b32 s2, 0xbb9c
	s_movk_i32 s5, 0x3b9c
	v_fma_f16 v64, v63, s2, v55
	v_sub_f16_e32 v65, v3, v5
	s_mov_b32 s3, 0xb8b4
	v_sub_f16_e32 v66, v28, v34
	v_sub_f16_e32 v69, v38, v36
	v_fma_f16 v55, v63, s5, v55
	s_movk_i32 s12, 0x38b4
	v_fma_f16 v64, v65, s3, v64
	v_add_f16_e32 v66, v66, v69
	s_movk_i32 s4, 0x34f2
	v_fma_f16 v55, v65, s12, v55
	v_fma_f16 v64, v66, s4, v64
	v_fma_f16 v55, v66, s4, v55
	v_add_f16_e32 v66, v28, v38
	v_lshrrev_b32_e32 v53, 16, v27
	v_add_f16_e32 v54, v27, v28
	v_fma_f16 v27, v66, -0.5, v27
	v_add_f16_e32 v54, v54, v34
	v_fma_f16 v66, v65, s5, v27
	v_fma_f16 v27, v65, s2, v27
	v_add_f16_e32 v65, v3, v5
	v_add_f16_e32 v54, v54, v36
	v_sub_f16_e32 v69, v34, v28
	v_sub_f16_e32 v70, v36, v38
	v_fma_f16 v65, v65, -0.5, v53
	v_sub_f16_e32 v28, v28, v38
	v_add_f16_e32 v54, v54, v38
	v_fma_f16 v66, v63, s3, v66
	v_add_f16_e32 v69, v69, v70
	v_fma_f16 v27, v63, s12, v27
	v_fma_f16 v38, v28, s5, v65
	v_sub_f16_e32 v34, v34, v36
	v_fma_f16 v66, v69, s4, v66
	v_fma_f16 v27, v69, s4, v27
	;; [unrolled: 1-line block ×3, first 2 shown]
	v_sub_f16_e32 v38, v1, v3
	v_sub_f16_e32 v69, v7, v5
	v_fma_f16 v65, v28, s2, v65
	v_add_f16_e32 v38, v38, v69
	v_fma_f16 v65, v34, s3, v65
	v_add_f16_e32 v63, v53, v1
	v_fma_f16 v36, v38, s4, v36
	v_fma_f16 v38, v38, s4, v65
	v_add_f16_e32 v65, v1, v7
	v_add_f16_e32 v63, v63, v3
	v_fma_f16 v53, v65, -0.5, v53
	v_sub_f16_e32 v1, v3, v1
	v_sub_f16_e32 v3, v5, v7
	v_add_f16_e32 v1, v1, v3
	v_fma_f16 v3, v34, s5, v53
	v_add_f16_e32 v63, v63, v5
	v_fma_f16 v3, v28, s3, v3
	;; [unrolled: 2-line block ×3, first 2 shown]
	v_fma_f16 v7, v1, s4, v3
	v_add_f16_e32 v3, v35, v37
	v_fma_f16 v65, v28, s12, v65
	v_fma_f16 v3, v3, -0.5, v73
	v_sub_f16_e32 v28, v2, v52
	v_fma_f16 v5, v1, s4, v65
	v_fma_f16 v34, v28, s2, v3
	v_sub_f16_e32 v53, v4, v6
	v_sub_f16_e32 v65, v33, v35
	;; [unrolled: 1-line block ×3, first 2 shown]
	v_fma_f16 v3, v28, s5, v3
	v_fma_f16 v34, v53, s3, v34
	v_add_f16_e32 v65, v65, v69
	v_fma_f16 v3, v53, s12, v3
	v_fma_f16 v34, v65, s4, v34
	v_fma_f16 v3, v65, s4, v3
	v_add_f16_e32 v65, v33, v51
	v_add_f16_e32 v1, v73, v33
	v_fma_f16 v65, v65, -0.5, v73
	v_add_f16_e32 v1, v1, v35
	v_fma_f16 v69, v53, s5, v65
	v_fma_f16 v53, v53, s2, v65
	v_add_f16_e32 v65, v4, v6
	v_add_f16_e32 v1, v1, v37
	v_sub_f16_e32 v70, v35, v33
	v_sub_f16_e32 v71, v37, v51
	v_fma_f16 v65, v65, -0.5, v0
	v_sub_f16_e32 v33, v33, v51
	v_add_f16_e32 v1, v1, v51
	v_fma_f16 v69, v28, s3, v69
	v_add_f16_e32 v70, v70, v71
	v_fma_f16 v28, v28, s12, v53
	v_fma_f16 v51, v33, s5, v65
	v_sub_f16_e32 v35, v35, v37
	v_fma_f16 v69, v70, s4, v69
	v_fma_f16 v28, v70, s4, v28
	;; [unrolled: 1-line block ×3, first 2 shown]
	v_sub_f16_e32 v51, v2, v4
	v_sub_f16_e32 v70, v52, v6
	v_fma_f16 v65, v33, s2, v65
	v_add_f16_e32 v51, v51, v70
	v_fma_f16 v65, v35, s3, v65
	v_fma_f16 v37, v51, s4, v37
	;; [unrolled: 1-line block ×3, first 2 shown]
	v_add_f16_e32 v65, v2, v52
	v_add_f16_e32 v53, v0, v2
	v_fma_f16 v0, v65, -0.5, v0
	v_add_f16_e32 v53, v53, v4
	v_fma_f16 v65, v35, s2, v0
	v_sub_f16_e32 v2, v4, v2
	v_sub_f16_e32 v4, v6, v52
	v_fma_f16 v0, v35, s5, v0
	v_fma_f16 v65, v33, s12, v65
	v_add_f16_e32 v2, v2, v4
	v_fma_f16 v0, v33, s3, v0
	v_add_f16_e32 v53, v53, v6
	v_fma_f16 v4, v2, s4, v65
	v_fma_f16 v0, v2, s4, v0
	v_mul_f16_e32 v2, 0xb8b4, v37
	s_movk_i32 s2, 0x3a79
	v_mul_f16_e32 v37, 0x3a79, v37
	v_add_f16_e32 v53, v53, v52
	v_fma_f16 v2, v34, s2, v2
	v_mul_f16_e32 v33, 0xbb9c, v4
	v_mul_f16_e32 v35, 0xbb9c, v0
	s_mov_b32 s2, 0xb4f2
	v_fma_f16 v34, v34, s12, v37
	v_mul_f16_e32 v4, 0x34f2, v4
	v_mul_f16_e32 v0, 0xb4f2, v0
	v_add_f16_e32 v6, v54, v1
	v_add_f16_e32 v52, v64, v2
	v_fma_f16 v33, v69, s4, v33
	v_fma_f16 v35, v28, s2, v35
	v_mul_f16_e32 v71, 0xb8b4, v51
	s_mov_b32 s2, 0xba79
	v_add_f16_e32 v73, v63, v53
	v_add_f16_e32 v37, v36, v34
	v_fma_f16 v4, v69, s5, v4
	v_fma_f16 v28, v28, s5, v0
	v_mul_f16_e32 v0, 0xba79, v51
	v_add_f16_e32 v65, v66, v33
	v_add_f16_e32 v70, v27, v35
	v_fma_f16 v71, v3, s2, v71
	v_add_f16_e32 v69, v5, v4
	v_add_f16_e32 v74, v7, v28
	v_fma_f16 v51, v3, s12, v0
	v_sub_f16_e32 v54, v54, v1
	v_sub_f16_e32 v1, v66, v33
	;; [unrolled: 1-line block ×4, first 2 shown]
	v_pack_b32_f16 v4, v6, v73
	v_pack_b32_f16 v5, v52, v37
	v_add_f16_e32 v72, v55, v71
	v_add_f16_e32 v75, v38, v51
	v_sub_f16_e32 v0, v64, v2
	v_sub_f16_e32 v2, v27, v35
	;; [unrolled: 1-line block ×3, first 2 shown]
	s_barrier
	ds_write2_b32 v58, v4, v5 offset1:3
	v_pack_b32_f16 v4, v65, v69
	v_pack_b32_f16 v5, v70, v74
	ds_write2_b32 v58, v4, v5 offset0:6 offset1:9
	v_pack_b32_f16 v4, v72, v75
	v_pack_b32_f16 v5, v54, v27
	v_sub_f16_e32 v3, v55, v71
	v_sub_f16_e32 v35, v7, v28
	;; [unrolled: 1-line block ×3, first 2 shown]
	ds_write2_b32 v58, v4, v5 offset0:12 offset1:15
	v_pack_b32_f16 v4, v0, v33
	v_pack_b32_f16 v5, v1, v36
	ds_write2_b32 v58, v4, v5 offset0:18 offset1:21
	v_pack_b32_f16 v4, v2, v35
	v_pack_b32_f16 v5, v3, v34
	ds_write2_b32 v58, v4, v5 offset0:24 offset1:27
	s_waitcnt lgkmcnt(0)
	s_barrier
	ds_read2_b32 v[4:5], v39 offset1:90
	ds_read2_b32 v[27:28], v32 offset0:52 offset1:142
	ds_read2_b32 v[6:7], v31 offset0:104 offset1:194
	s_and_saveexec_b64 s[2:3], vcc
	s_cbranch_execz .LBB0_23
; %bb.22:
	ds_read2_b32 v[0:1], v39 offset0:54 offset1:144
	ds_read2_b32 v[2:3], v32 offset0:106 offset1:196
	;; [unrolled: 1-line block ×3, first 2 shown]
	s_waitcnt lgkmcnt(2)
	v_lshrrev_b32_e32 v33, 16, v0
	v_lshrrev_b32_e32 v36, 16, v1
	s_waitcnt lgkmcnt(1)
	v_lshrrev_b32_e32 v35, 16, v2
	v_lshrrev_b32_e32 v34, 16, v3
	;; [unrolled: 3-line block ×3, first 2 shown]
.LBB0_23:
	s_or_b64 exec, exec, s[2:3]
	s_waitcnt lgkmcnt(2)
	v_lshrrev_b32_e32 v32, 16, v5
	v_mul_f16_sdwa v53, v8, v32 dst_sel:DWORD dst_unused:UNUSED_PAD src0_sel:WORD_1 src1_sel:DWORD
	v_fma_f16 v53, v8, v5, v53
	v_mul_f16_sdwa v5, v8, v5 dst_sel:DWORD dst_unused:UNUSED_PAD src0_sel:WORD_1 src1_sel:DWORD
	v_fma_f16 v5, v8, v32, -v5
	v_mul_f16_sdwa v32, v12, v36 dst_sel:DWORD dst_unused:UNUSED_PAD src0_sel:WORD_1 src1_sel:DWORD
	v_fma_f16 v32, v12, v1, v32
	v_mul_f16_sdwa v1, v12, v1 dst_sel:DWORD dst_unused:UNUSED_PAD src0_sel:WORD_1 src1_sel:DWORD
	s_waitcnt lgkmcnt(1)
	v_lshrrev_b32_e32 v37, 16, v27
	v_fma_f16 v1, v12, v36, -v1
	v_mul_f16_sdwa v12, v13, v35 dst_sel:DWORD dst_unused:UNUSED_PAD src0_sel:WORD_1 src1_sel:DWORD
	v_mul_f16_sdwa v8, v9, v37 dst_sel:DWORD dst_unused:UNUSED_PAD src0_sel:WORD_1 src1_sel:DWORD
	v_fma_f16 v12, v13, v2, v12
	v_mul_f16_sdwa v2, v13, v2 dst_sel:DWORD dst_unused:UNUSED_PAD src0_sel:WORD_1 src1_sel:DWORD
	v_lshrrev_b32_e32 v38, 16, v28
	v_fma_f16 v8, v9, v27, v8
	v_mul_f16_sdwa v27, v9, v27 dst_sel:DWORD dst_unused:UNUSED_PAD src0_sel:WORD_1 src1_sel:DWORD
	v_fma_f16 v13, v13, v35, -v2
	v_mul_f16_sdwa v2, v14, v34 dst_sel:DWORD dst_unused:UNUSED_PAD src0_sel:WORD_1 src1_sel:DWORD
	v_fma_f16 v9, v9, v37, -v27
	v_mul_f16_sdwa v27, v10, v38 dst_sel:DWORD dst_unused:UNUSED_PAD src0_sel:WORD_1 src1_sel:DWORD
	v_fma_f16 v35, v14, v3, v2
	v_mul_f16_sdwa v2, v14, v3 dst_sel:DWORD dst_unused:UNUSED_PAD src0_sel:WORD_1 src1_sel:DWORD
	s_waitcnt lgkmcnt(0)
	v_lshrrev_b32_e32 v51, 16, v6
	v_fma_f16 v27, v10, v28, v27
	v_mul_f16_sdwa v28, v10, v28 dst_sel:DWORD dst_unused:UNUSED_PAD src0_sel:WORD_1 src1_sel:DWORD
	v_fma_f16 v14, v14, v34, -v2
	v_mul_f16_sdwa v2, v15, v67 dst_sel:DWORD dst_unused:UNUSED_PAD src0_sel:WORD_1 src1_sel:DWORD
	v_fma_f16 v10, v10, v38, -v28
	v_mul_f16_sdwa v28, v11, v51 dst_sel:DWORD dst_unused:UNUSED_PAD src0_sel:WORD_1 src1_sel:DWORD
	v_fma_f16 v34, v15, v29, v2
	v_mul_f16_sdwa v2, v15, v29 dst_sel:DWORD dst_unused:UNUSED_PAD src0_sel:WORD_1 src1_sel:DWORD
	v_fma_f16 v28, v11, v6, v28
	v_mul_f16_sdwa v6, v11, v6 dst_sel:DWORD dst_unused:UNUSED_PAD src0_sel:WORD_1 src1_sel:DWORD
	v_fma_f16 v15, v15, v67, -v2
	v_mul_f16_sdwa v2, v60, v68 dst_sel:DWORD dst_unused:UNUSED_PAD src0_sel:WORD_1 src1_sel:DWORD
	v_lshrrev_b32_e32 v52, 16, v7
	v_fma_f16 v6, v11, v51, -v6
	v_fma_f16 v29, v60, v30, v2
	v_mul_f16_sdwa v2, v60, v30 dst_sel:DWORD dst_unused:UNUSED_PAD src0_sel:WORD_1 src1_sel:DWORD
	v_add_f16_e32 v3, v8, v28
	v_lshrrev_b32_e32 v31, 16, v4
	v_mul_f16_sdwa v11, v59, v52 dst_sel:DWORD dst_unused:UNUSED_PAD src0_sel:WORD_1 src1_sel:DWORD
	v_fma_f16 v30, v60, v68, -v2
	v_add_f16_e32 v2, v4, v8
	v_fma_f16 v3, v3, -0.5, v4
	v_sub_f16_e32 v4, v9, v6
	s_mov_b32 s2, 0xbaee
	s_movk_i32 s3, 0x3aee
	v_fma_f16 v11, v59, v7, v11
	v_mul_f16_sdwa v7, v59, v7 dst_sel:DWORD dst_unused:UNUSED_PAD src0_sel:WORD_1 src1_sel:DWORD
	v_fma_f16 v36, v4, s2, v3
	v_fma_f16 v3, v4, s3, v3
	v_add_f16_e32 v4, v31, v9
	v_fma_f16 v7, v59, v52, -v7
	v_add_f16_e32 v2, v2, v28
	v_add_f16_e32 v4, v4, v6
	v_add_f16_e32 v6, v9, v6
	v_sub_f16_e32 v8, v8, v28
	v_add_f16_e32 v28, v27, v11
	v_fma_f16 v6, v6, -0.5, v31
	v_fma_f16 v28, v28, -0.5, v53
	v_sub_f16_e32 v31, v10, v7
	v_fma_f16 v37, v31, s2, v28
	v_fma_f16 v28, v31, s3, v28
	v_add_f16_e32 v31, v5, v10
	v_add_f16_e32 v31, v31, v7
	;; [unrolled: 1-line block ×3, first 2 shown]
	v_fma_f16 v5, v7, -0.5, v5
	v_sub_f16_e32 v7, v27, v11
	v_fma_f16 v9, v8, s3, v6
	v_fma_f16 v6, v8, s2, v6
	v_add_f16_e32 v8, v53, v27
	v_fma_f16 v10, v7, s3, v5
	v_fma_f16 v5, v7, s2, v5
	v_add_f16_e32 v8, v8, v11
	v_mul_f16_e32 v11, 0xbaee, v5
	v_fma_f16 v11, v28, -0.5, v11
	v_add_f16_e32 v52, v3, v11
	v_sub_f16_e32 v58, v3, v11
	v_add_f16_e32 v3, v12, v34
	v_add_f16_e32 v38, v2, v8
	;; [unrolled: 1-line block ×3, first 2 shown]
	v_mul_f16_e32 v5, -0.5, v5
	v_sub_f16_e32 v55, v2, v8
	v_sub_f16_e32 v31, v4, v31
	v_add_f16_e32 v2, v0, v12
	v_fma_f16 v0, v3, -0.5, v0
	v_sub_f16_e32 v4, v13, v15
	v_fma_f16 v5, v28, s3, v5
	v_fma_f16 v3, v4, s2, v0
	;; [unrolled: 1-line block ×3, first 2 shown]
	v_add_f16_e32 v0, v33, v13
	v_mul_f16_e32 v7, 0xbaee, v10
	v_add_f16_e32 v54, v6, v5
	v_sub_f16_e32 v60, v6, v5
	v_add_f16_e32 v5, v0, v15
	v_add_f16_e32 v0, v13, v15
	v_fma_f16 v7, v37, 0.5, v7
	v_fma_f16 v0, v0, -0.5, v33
	v_sub_f16_e32 v6, v12, v34
	v_add_f16_e32 v51, v36, v7
	v_mul_f16_e32 v10, 0.5, v10
	v_sub_f16_e32 v36, v36, v7
	v_fma_f16 v7, v6, s3, v0
	v_fma_f16 v8, v6, s2, v0
	v_add_f16_e32 v0, v32, v35
	v_fma_f16 v10, v37, s3, v10
	v_add_f16_e32 v6, v0, v29
	v_add_f16_e32 v0, v35, v29
	;; [unrolled: 1-line block ×3, first 2 shown]
	v_sub_f16_e32 v59, v9, v10
	v_fma_f16 v0, v0, -0.5, v32
	v_sub_f16_e32 v9, v14, v30
	v_add_f16_e32 v11, v14, v30
	v_fma_f16 v10, v9, s2, v0
	v_fma_f16 v0, v9, s3, v0
	v_add_f16_e32 v9, v1, v14
	v_fma_f16 v1, v11, -0.5, v1
	v_sub_f16_e32 v11, v35, v29
	v_fma_f16 v12, v11, s3, v1
	v_fma_f16 v1, v11, s2, v1
	v_mul_f16_e32 v11, 0xbaee, v12
	v_fma_f16 v14, v10, 0.5, v11
	v_mul_f16_e32 v11, 0xbaee, v1
	v_add_f16_e32 v9, v9, v30
	v_fma_f16 v15, v0, -0.5, v11
	v_mul_f16_e32 v11, 0.5, v12
	v_mul_f16_e32 v1, -0.5, v1
	v_pack_b32_f16 v29, v38, v53
	v_pack_b32_f16 v30, v51, v37
	v_add_f16_e32 v2, v2, v34
	v_fma_f16 v27, v10, s3, v11
	v_fma_f16 v28, v0, s3, v1
	s_barrier
	ds_write2_b32 v61, v29, v30 offset1:30
	v_pack_b32_f16 v29, v52, v54
	v_pack_b32_f16 v30, v55, v31
	v_sub_f16_e32 v0, v2, v6
	v_sub_f16_e32 v1, v3, v14
	;; [unrolled: 1-line block ×6, first 2 shown]
	ds_write2_b32 v61, v29, v30 offset0:60 offset1:90
	v_pack_b32_f16 v29, v36, v59
	v_pack_b32_f16 v30, v58, v60
	ds_write2_b32 v61, v29, v30 offset0:120 offset1:150
	s_and_saveexec_b64 s[2:3], vcc
	s_cbranch_execz .LBB0_25
; %bb.24:
	v_add_f16_e32 v2, v2, v6
	v_mul_u32_u24_e32 v6, 0xb4, v56
	v_add_f16_e32 v7, v7, v27
	v_add_f16_e32 v5, v5, v9
	;; [unrolled: 1-line block ×3, first 2 shown]
	v_add_u32_e32 v6, v6, v57
	v_add_f16_e32 v8, v8, v28
	v_add_f16_e32 v4, v4, v15
	v_lshl_add_u32 v6, v6, 2, v50
	v_pack_b32_f16 v2, v2, v5
	v_pack_b32_f16 v3, v3, v7
	s_mov_b32 s4, 0x5040100
	ds_write2_b32 v6, v2, v3 offset1:30
	v_pack_b32_f16 v2, v4, v8
	v_perm_b32 v3, v10, v0, s4
	ds_write2_b32 v6, v2, v3 offset0:60 offset1:90
	v_perm_b32 v2, v12, v1, s4
	v_perm_b32 v3, v13, v11, s4
	ds_write2_b32 v6, v2, v3 offset0:120 offset1:150
.LBB0_25:
	s_or_b64 exec, exec, s[2:3]
	v_add_u32_e32 v6, 0x400, v39
	v_add_u32_e32 v15, 0x200, v39
	s_waitcnt lgkmcnt(0)
	s_barrier
	ds_read2_b32 v[4:5], v39 offset1:54
	ds_read2_b32 v[2:3], v39 offset0:108 offset1:180
	ds_read2_b32 v[8:9], v6 offset0:104 offset1:158
	;; [unrolled: 1-line block ×3, first 2 shown]
	ds_read_b32 v27, v39 offset:1872
	v_add_u32_e32 v14, 0x1b0, v62
	s_and_saveexec_b64 s[2:3], s[0:1]
	s_cbranch_execz .LBB0_27
; %bb.26:
	ds_read2_b32 v[0:1], v15 offset0:34 offset1:214
	ds_read_b32 v11, v39 offset:2088
	s_waitcnt lgkmcnt(1)
	v_lshrrev_b32_e32 v10, 16, v0
	v_lshrrev_b32_e32 v12, 16, v1
	s_waitcnt lgkmcnt(0)
	v_lshrrev_b32_e32 v13, 16, v11
.LBB0_27:
	s_or_b64 exec, exec, s[2:3]
	s_waitcnt lgkmcnt(3)
	v_lshrrev_b32_e32 v29, 16, v3
	v_mul_f16_sdwa v37, v21, v29 dst_sel:DWORD dst_unused:UNUSED_PAD src0_sel:WORD_1 src1_sel:DWORD
	s_waitcnt lgkmcnt(2)
	v_lshrrev_b32_e32 v30, 16, v8
	v_fma_f16 v37, v21, v3, v37
	v_mul_f16_sdwa v3, v21, v3 dst_sel:DWORD dst_unused:UNUSED_PAD src0_sel:WORD_1 src1_sel:DWORD
	v_fma_f16 v3, v21, v29, -v3
	v_mul_f16_sdwa v21, v22, v30 dst_sel:DWORD dst_unused:UNUSED_PAD src0_sel:WORD_1 src1_sel:DWORD
	s_waitcnt lgkmcnt(1)
	v_lshrrev_b32_e32 v32, 16, v6
	v_fma_f16 v21, v22, v8, v21
	v_mul_f16_sdwa v8, v22, v8 dst_sel:DWORD dst_unused:UNUSED_PAD src0_sel:WORD_1 src1_sel:DWORD
	v_fma_f16 v8, v22, v30, -v8
	v_mul_f16_sdwa v22, v23, v32 dst_sel:DWORD dst_unused:UNUSED_PAD src0_sel:WORD_1 src1_sel:DWORD
	v_lshrrev_b32_e32 v33, 16, v9
	v_fma_f16 v22, v23, v6, v22
	v_mul_f16_sdwa v6, v23, v6 dst_sel:DWORD dst_unused:UNUSED_PAD src0_sel:WORD_1 src1_sel:DWORD
	v_fma_f16 v6, v23, v32, -v6
	v_mul_f16_sdwa v23, v24, v33 dst_sel:DWORD dst_unused:UNUSED_PAD src0_sel:WORD_1 src1_sel:DWORD
	;; [unrolled: 5-line block ×3, first 2 shown]
	s_waitcnt lgkmcnt(0)
	v_lshrrev_b32_e32 v36, 16, v27
	v_fma_f16 v24, v25, v7, v24
	v_mul_f16_sdwa v7, v25, v7 dst_sel:DWORD dst_unused:UNUSED_PAD src0_sel:WORD_1 src1_sel:DWORD
	v_fma_f16 v7, v25, v35, -v7
	v_mul_f16_sdwa v25, v26, v36 dst_sel:DWORD dst_unused:UNUSED_PAD src0_sel:WORD_1 src1_sel:DWORD
	v_fma_f16 v25, v26, v27, v25
	v_mul_f16_sdwa v27, v26, v27 dst_sel:DWORD dst_unused:UNUSED_PAD src0_sel:WORD_1 src1_sel:DWORD
	v_add_f16_e32 v29, v37, v21
	v_lshrrev_b32_e32 v28, 16, v4
	v_fma_f16 v26, v26, v36, -v27
	v_add_f16_e32 v27, v4, v37
	v_fma_f16 v4, v29, -0.5, v4
	v_sub_f16_e32 v29, v3, v8
	s_mov_b32 s4, 0xbaee
	s_movk_i32 s5, 0x3aee
	v_fma_f16 v30, v29, s4, v4
	v_fma_f16 v4, v29, s5, v4
	v_add_f16_e32 v29, v28, v3
	v_add_f16_e32 v3, v3, v8
	;; [unrolled: 1-line block ×3, first 2 shown]
	v_fma_f16 v3, v3, -0.5, v28
	v_sub_f16_e32 v8, v37, v21
	v_add_f16_e32 v28, v22, v23
	v_lshrrev_b32_e32 v31, 16, v5
	v_add_f16_e32 v27, v27, v21
	v_fma_f16 v21, v8, s5, v3
	v_fma_f16 v3, v8, s4, v3
	v_add_f16_e32 v8, v5, v22
	v_fma_f16 v5, v28, -0.5, v5
	v_sub_f16_e32 v28, v6, v9
	v_fma_f16 v32, v28, s4, v5
	v_fma_f16 v5, v28, s5, v5
	v_add_f16_e32 v28, v31, v6
	v_add_f16_e32 v6, v6, v9
	;; [unrolled: 1-line block ×4, first 2 shown]
	v_fma_f16 v6, v6, -0.5, v31
	v_sub_f16_e32 v9, v22, v23
	v_add_f16_e32 v23, v24, v25
	v_lshrrev_b32_e32 v34, 16, v2
	v_fma_f16 v22, v9, s5, v6
	v_fma_f16 v6, v9, s4, v6
	v_add_f16_e32 v9, v2, v24
	v_fma_f16 v2, v23, -0.5, v2
	v_sub_f16_e32 v23, v7, v26
	v_fma_f16 v31, v23, s4, v2
	v_fma_f16 v2, v23, s5, v2
	v_add_f16_e32 v23, v34, v7
	v_add_f16_e32 v7, v7, v26
	v_fma_f16 v7, v7, -0.5, v34
	v_sub_f16_e32 v24, v24, v25
	v_add_f16_e32 v9, v9, v25
	v_fma_f16 v25, v24, s5, v7
	v_fma_f16 v7, v24, s4, v7
	v_pack_b32_f16 v24, v27, v29
	v_pack_b32_f16 v3, v4, v3
	;; [unrolled: 1-line block ×3, first 2 shown]
	ds_write2_b32 v39, v24, v4 offset1:54
	v_pack_b32_f16 v4, v32, v22
	v_add_f16_e32 v23, v23, v26
	ds_write2_b32 v15, v4, v3 offset0:106 offset1:232
	v_pack_b32_f16 v3, v5, v6
	v_pack_b32_f16 v21, v30, v21
	ds_write_b32 v39, v3 offset:1656
	v_pack_b32_f16 v3, v9, v23
	ds_write2_b32 v39, v3, v21 offset0:108 offset1:180
	v_pack_b32_f16 v3, v31, v25
	v_pack_b32_f16 v2, v2, v7
	v_add_u32_e32 v4, 0x200, v14
	ds_write2_b32 v4, v3, v2 offset0:52 offset1:232
	s_and_saveexec_b64 s[2:3], s[0:1]
	s_cbranch_execz .LBB0_29
; %bb.28:
	v_mul_f16_sdwa v2, v19, v1 dst_sel:DWORD dst_unused:UNUSED_PAD src0_sel:WORD_1 src1_sel:DWORD
	v_mul_f16_sdwa v3, v20, v11 dst_sel:DWORD dst_unused:UNUSED_PAD src0_sel:WORD_1 src1_sel:DWORD
	;; [unrolled: 1-line block ×3, first 2 shown]
	v_fma_f16 v2, v19, v12, -v2
	v_fma_f16 v3, v20, v13, -v3
	v_fma_f16 v1, v19, v1, v5
	v_mul_f16_sdwa v5, v20, v13 dst_sel:DWORD dst_unused:UNUSED_PAD src0_sel:WORD_1 src1_sel:DWORD
	v_add_f16_e32 v4, v2, v3
	v_fma_f16 v5, v20, v11, v5
	v_fma_f16 v4, v4, -0.5, v10
	v_sub_f16_e32 v6, v1, v5
	v_add_f16_e32 v8, v1, v5
	v_fma_f16 v7, v6, s4, v4
	v_fma_f16 v4, v6, s5, v4
	v_add_f16_e32 v6, v10, v2
	v_fma_f16 v8, v8, -0.5, v0
	v_sub_f16_e32 v2, v2, v3
	v_add_f16_e32 v0, v0, v1
	v_add_f16_e32 v6, v6, v3
	v_fma_f16 v3, v2, s5, v8
	v_fma_f16 v2, v2, s4, v8
	v_add_f16_e32 v0, v0, v5
	v_pack_b32_f16 v0, v0, v6
	v_pack_b32_f16 v1, v2, v4
	v_add_u32_e32 v2, 0x200, v39
	ds_write2_b32 v2, v0, v1 offset0:34 offset1:214
	v_pack_b32_f16 v0, v3, v7
	ds_write_b32 v39, v0 offset:2088
.LBB0_29:
	s_or_b64 exec, exec, s[2:3]
	s_waitcnt lgkmcnt(0)
	s_barrier
	ds_read2_b32 v[2:3], v39 offset1:54
	s_mov_b32 s12, 0xc901e574
	s_mov_b32 s13, 0x3f5e573a
	v_mad_u64_u32 v[4:5], s[2:3], s10, v18, 0
	s_waitcnt lgkmcnt(0)
	v_lshrrev_b32_e32 v7, 16, v2
	v_mul_f16_sdwa v0, v49, v7 dst_sel:DWORD dst_unused:UNUSED_PAD src0_sel:WORD_1 src1_sel:DWORD
	v_fma_f16 v0, v49, v2, v0
	v_cvt_f32_f16_e32 v0, v0
	s_movk_i32 s10, 0x1ff
	v_mad_u64_u32 v[5:6], s[2:3], s11, v18, v[5:6]
	v_cvt_f64_f32_e32 v[0:1], v0
	s_movk_i32 s11, 0xffe
	v_mul_f16_sdwa v2, v49, v2 dst_sel:DWORD dst_unused:UNUSED_PAD src0_sel:WORD_1 src1_sel:DWORD
	v_fma_f16 v2, v49, v7, -v2
	v_mul_f64 v[0:1], v[0:1], s[12:13]
	v_cvt_f32_f16_e32 v7, v2
	v_mov_b32_e32 v2, 0x7c00
	s_movk_i32 s14, 0x40f
	s_mov_b32 s15, 0x8000
	v_lshlrev_b64 v[4:5], 2, v[4:5]
	v_and_or_b32 v0, v1, s10, v0
	v_cmp_ne_u32_e32 vcc, 0, v0
	v_lshrrev_b32_e32 v6, 8, v1
	v_bfe_u32 v8, v1, 20, 11
	v_cndmask_b32_e64 v0, 0, 1, vcc
	v_sub_u32_e32 v9, 0x3f1, v8
	v_and_or_b32 v0, v6, s11, v0
	v_or_b32_e32 v6, 0x1000, v0
	v_med3_i32 v9, v9, 0, 13
	v_lshrrev_b32_e32 v10, v9, v6
	v_lshlrev_b32_e32 v9, v9, v10
	v_cmp_ne_u32_e32 vcc, v9, v6
	v_cndmask_b32_e64 v6, 0, 1, vcc
	v_add_u32_e32 v8, 0xfffffc10, v8
	v_or_b32_e32 v6, v10, v6
	v_lshl_or_b32 v9, v8, 12, v0
	v_cmp_gt_i32_e32 vcc, 1, v8
	v_cndmask_b32_e32 v6, v9, v6, vcc
	v_and_b32_e32 v9, 7, v6
	v_cmp_lt_i32_e32 vcc, 5, v9
	v_cmp_eq_u32_e64 s[2:3], 3, v9
	v_lshrrev_b32_e32 v6, 2, v6
	s_or_b64 vcc, s[2:3], vcc
	v_addc_co_u32_e32 v9, vcc, 0, v6, vcc
	v_cvt_f64_f32_e32 v[6:7], v7
	v_cmp_gt_i32_e32 vcc, 31, v8
	v_cndmask_b32_e32 v9, v2, v9, vcc
	v_cmp_ne_u32_e32 vcc, 0, v0
	v_mul_f64 v[6:7], v[6:7], s[12:13]
	v_cndmask_b32_e64 v0, 0, 1, vcc
	v_lshl_or_b32 v0, v0, 9, v2
	v_cmp_eq_u32_e32 vcc, s14, v8
	v_cndmask_b32_e32 v0, v9, v0, vcc
	v_lshrrev_b32_e32 v1, 16, v1
	v_and_or_b32 v10, v1, s15, v0
	v_and_b32_e32 v10, 0xffff, v10
	v_and_or_b32 v0, v7, s10, v6
	v_cmp_ne_u32_e32 vcc, 0, v0
	v_cndmask_b32_e64 v0, 0, 1, vcc
	v_lshrrev_b32_e32 v1, 8, v7
	v_bfe_u32 v6, v7, 20, 11
	v_and_or_b32 v0, v1, s11, v0
	v_sub_u32_e32 v8, 0x3f1, v6
	v_or_b32_e32 v1, 0x1000, v0
	v_med3_i32 v8, v8, 0, 13
	v_lshrrev_b32_e32 v9, v8, v1
	v_lshlrev_b32_e32 v8, v8, v9
	v_cmp_ne_u32_e32 vcc, v8, v1
	v_cndmask_b32_e64 v1, 0, 1, vcc
	v_add_u32_e32 v6, 0xfffffc10, v6
	v_or_b32_e32 v1, v9, v1
	v_lshl_or_b32 v8, v6, 12, v0
	v_cmp_gt_i32_e32 vcc, 1, v6
	v_cndmask_b32_e32 v1, v8, v1, vcc
	v_and_b32_e32 v8, 7, v1
	v_cmp_lt_i32_e32 vcc, 5, v8
	v_cmp_eq_u32_e64 s[2:3], 3, v8
	v_lshrrev_b32_e32 v1, 2, v1
	s_or_b64 vcc, s[2:3], vcc
	v_addc_co_u32_e32 v1, vcc, 0, v1, vcc
	v_cmp_gt_i32_e32 vcc, 31, v6
	v_cndmask_b32_e32 v1, v2, v1, vcc
	v_cmp_ne_u32_e32 vcc, 0, v0
	v_cndmask_b32_e64 v0, 0, 1, vcc
	v_lshl_or_b32 v0, v0, 9, v2
	v_cmp_eq_u32_e32 vcc, s14, v6
	v_mad_u64_u32 v[8:9], s[2:3], s8, v48, 0
	v_cndmask_b32_e32 v11, v1, v0, vcc
	ds_read2_b32 v[0:1], v39 offset0:108 offset1:180
	v_mov_b32_e32 v6, v9
	v_lshrrev_b32_e32 v12, 16, v7
	v_mad_u64_u32 v[6:7], s[2:3], s9, v48, v[6:7]
	s_waitcnt lgkmcnt(0)
	v_lshrrev_b32_e32 v13, 16, v1
	v_mul_f16_sdwa v7, v47, v13 dst_sel:DWORD dst_unused:UNUSED_PAD src0_sel:WORD_1 src1_sel:DWORD
	v_fma_f16 v7, v47, v1, v7
	v_cvt_f32_f16_e32 v7, v7
	v_mov_b32_e32 v9, v6
	v_and_or_b32 v11, v12, s15, v11
	v_lshl_or_b32 v10, v11, 16, v10
	v_cvt_f64_f32_e32 v[6:7], v7
	v_mov_b32_e32 v11, s7
	v_add_co_u32_e32 v12, vcc, s6, v4
	v_mul_f64 v[6:7], v[6:7], s[12:13]
	v_addc_co_u32_e32 v11, vcc, v11, v5, vcc
	v_lshlrev_b64 v[4:5], 2, v[8:9]
	v_mul_f16_sdwa v1, v47, v1 dst_sel:DWORD dst_unused:UNUSED_PAD src0_sel:WORD_1 src1_sel:DWORD
	v_add_co_u32_e32 v4, vcc, v12, v4
	v_addc_co_u32_e32 v5, vcc, v11, v5, vcc
	v_and_or_b32 v6, v7, s10, v6
	v_cmp_ne_u32_e32 vcc, 0, v6
	v_cndmask_b32_e64 v6, 0, 1, vcc
	v_lshrrev_b32_e32 v8, 8, v7
	v_bfe_u32 v9, v7, 20, 11
	global_store_dword v[4:5], v10, off
	v_and_or_b32 v6, v8, s11, v6
	v_sub_u32_e32 v10, 0x3f1, v9
	v_or_b32_e32 v8, 0x1000, v6
	v_med3_i32 v10, v10, 0, 13
	v_lshrrev_b32_e32 v11, v10, v8
	v_lshlrev_b32_e32 v10, v10, v11
	v_cmp_ne_u32_e32 vcc, v10, v8
	v_fma_f16 v1, v47, v13, -v1
	v_cndmask_b32_e64 v8, 0, 1, vcc
	v_add_u32_e32 v10, 0xfffffc10, v9
	v_cvt_f32_f16_e32 v1, v1
	v_or_b32_e32 v8, v11, v8
	v_lshl_or_b32 v9, v10, 12, v6
	v_cmp_gt_i32_e32 vcc, 1, v10
	v_cndmask_b32_e32 v8, v9, v8, vcc
	v_and_b32_e32 v9, 7, v8
	v_cmp_lt_i32_e32 vcc, 5, v9
	v_cmp_eq_u32_e64 s[2:3], 3, v9
	v_lshrrev_b32_e32 v11, 2, v8
	v_cvt_f64_f32_e32 v[8:9], v1
	s_or_b64 vcc, s[2:3], vcc
	v_addc_co_u32_e32 v1, vcc, 0, v11, vcc
	v_mul_f64 v[8:9], v[8:9], s[12:13]
	v_cmp_gt_i32_e32 vcc, 31, v10
	v_cndmask_b32_e32 v1, v2, v1, vcc
	v_cmp_ne_u32_e32 vcc, 0, v6
	v_cndmask_b32_e64 v6, 0, 1, vcc
	v_lshl_or_b32 v6, v6, 9, v2
	v_cmp_eq_u32_e32 vcc, s14, v10
	v_cndmask_b32_e32 v1, v1, v6, vcc
	v_lshrrev_b32_e32 v6, 16, v7
	v_and_or_b32 v1, v6, s15, v1
	v_and_or_b32 v6, v9, s10, v8
	v_cmp_ne_u32_e32 vcc, 0, v6
	v_cndmask_b32_e64 v6, 0, 1, vcc
	v_lshrrev_b32_e32 v7, 8, v9
	v_bfe_u32 v8, v9, 20, 11
	v_and_or_b32 v6, v7, s11, v6
	v_sub_u32_e32 v10, 0x3f1, v8
	v_or_b32_e32 v7, 0x1000, v6
	v_med3_i32 v10, v10, 0, 13
	v_lshrrev_b32_e32 v11, v10, v7
	v_lshlrev_b32_e32 v10, v10, v11
	v_cmp_ne_u32_e32 vcc, v10, v7
	v_cndmask_b32_e64 v7, 0, 1, vcc
	v_add_u32_e32 v8, 0xfffffc10, v8
	v_or_b32_e32 v7, v11, v7
	v_lshl_or_b32 v10, v8, 12, v6
	v_cmp_gt_i32_e32 vcc, 1, v8
	v_cndmask_b32_e32 v7, v10, v7, vcc
	v_and_b32_e32 v10, 7, v7
	v_cmp_lt_i32_e32 vcc, 5, v10
	v_cmp_eq_u32_e64 s[2:3], 3, v10
	v_lshrrev_b32_e32 v7, 2, v7
	s_or_b64 vcc, s[2:3], vcc
	v_addc_co_u32_e32 v7, vcc, 0, v7, vcc
	v_cmp_gt_i32_e32 vcc, 31, v8
	v_cndmask_b32_e32 v10, v2, v7, vcc
	v_cmp_ne_u32_e32 vcc, 0, v6
	v_cndmask_b32_e64 v6, 0, 1, vcc
	v_lshl_or_b32 v11, v6, 9, v2
	v_add_u32_e32 v6, 0x400, v39
	ds_read2_b32 v[6:7], v6 offset0:104 offset1:158
	v_cmp_eq_u32_e32 vcc, s14, v8
	v_cndmask_b32_e32 v8, v10, v11, vcc
	v_lshrrev_b32_e32 v9, 16, v9
	v_and_or_b32 v10, v9, s15, v8
	s_waitcnt lgkmcnt(0)
	v_lshrrev_b32_e32 v11, 16, v6
	v_mul_f16_sdwa v8, v46, v11 dst_sel:DWORD dst_unused:UNUSED_PAD src0_sel:WORD_1 src1_sel:DWORD
	v_fma_f16 v8, v46, v6, v8
	v_cvt_f32_f16_e32 v8, v8
	s_mul_i32 s2, s9, 0xb4
	s_mul_hi_u32 s3, s8, 0xb4
	s_add_i32 s3, s3, s2
	v_cvt_f64_f32_e32 v[8:9], v8
	s_mul_i32 s2, s8, 0xb4
	v_and_b32_e32 v1, 0xffff, v1
	s_lshl_b64 s[6:7], s[2:3], 2
	v_mul_f64 v[8:9], v[8:9], s[12:13]
	v_lshl_or_b32 v10, v10, 16, v1
	v_mov_b32_e32 v1, s7
	v_add_co_u32_e32 v4, vcc, s6, v4
	v_addc_co_u32_e32 v5, vcc, v5, v1, vcc
	global_store_dword v[4:5], v10, off
	v_and_or_b32 v8, v9, s10, v8
	v_cmp_ne_u32_e32 vcc, 0, v8
	v_cndmask_b32_e64 v8, 0, 1, vcc
	v_lshrrev_b32_e32 v10, 8, v9
	v_bfe_u32 v12, v9, 20, 11
	v_and_or_b32 v8, v10, s11, v8
	v_sub_u32_e32 v13, 0x3f1, v12
	v_or_b32_e32 v10, 0x1000, v8
	v_med3_i32 v13, v13, 0, 13
	v_lshrrev_b32_e32 v14, v13, v10
	v_lshlrev_b32_e32 v13, v13, v14
	v_mul_f16_sdwa v6, v46, v6 dst_sel:DWORD dst_unused:UNUSED_PAD src0_sel:WORD_1 src1_sel:DWORD
	v_cmp_ne_u32_e32 vcc, v13, v10
	v_fma_f16 v6, v46, v11, -v6
	v_cndmask_b32_e64 v10, 0, 1, vcc
	v_add_u32_e32 v12, 0xfffffc10, v12
	v_cvt_f32_f16_e32 v6, v6
	v_or_b32_e32 v10, v14, v10
	v_lshl_or_b32 v13, v12, 12, v8
	v_cmp_gt_i32_e32 vcc, 1, v12
	v_cndmask_b32_e32 v10, v13, v10, vcc
	v_and_b32_e32 v13, 7, v10
	v_cmp_lt_i32_e32 vcc, 5, v13
	v_cmp_eq_u32_e64 s[2:3], 3, v13
	v_lshrrev_b32_e32 v13, 2, v10
	v_cvt_f64_f32_e32 v[10:11], v6
	s_or_b64 vcc, s[2:3], vcc
	v_addc_co_u32_e32 v6, vcc, 0, v13, vcc
	v_mul_f64 v[10:11], v[10:11], s[12:13]
	v_cmp_gt_i32_e32 vcc, 31, v12
	v_cndmask_b32_e32 v6, v2, v6, vcc
	v_cmp_ne_u32_e32 vcc, 0, v8
	v_cndmask_b32_e64 v8, 0, 1, vcc
	v_lshl_or_b32 v8, v8, 9, v2
	v_cmp_eq_u32_e32 vcc, s14, v12
	v_cndmask_b32_e32 v6, v6, v8, vcc
	v_lshrrev_b32_e32 v8, 16, v9
	v_and_or_b32 v6, v8, s15, v6
	v_and_or_b32 v8, v11, s10, v10
	v_cmp_ne_u32_e32 vcc, 0, v8
	v_cndmask_b32_e64 v8, 0, 1, vcc
	v_lshrrev_b32_e32 v9, 8, v11
	v_bfe_u32 v10, v11, 20, 11
	v_and_or_b32 v8, v9, s11, v8
	v_sub_u32_e32 v12, 0x3f1, v10
	v_or_b32_e32 v9, 0x1000, v8
	v_med3_i32 v12, v12, 0, 13
	v_lshrrev_b32_e32 v13, v12, v9
	v_lshlrev_b32_e32 v12, v12, v13
	v_cmp_ne_u32_e32 vcc, v12, v9
	v_cndmask_b32_e64 v9, 0, 1, vcc
	v_add_u32_e32 v10, 0xfffffc10, v10
	v_or_b32_e32 v9, v13, v9
	v_lshl_or_b32 v12, v10, 12, v8
	v_cmp_gt_i32_e32 vcc, 1, v10
	v_cndmask_b32_e32 v9, v12, v9, vcc
	v_and_b32_e32 v12, 7, v9
	v_cmp_lt_i32_e32 vcc, 5, v12
	v_cmp_eq_u32_e64 s[2:3], 3, v12
	v_lshrrev_b32_e32 v9, 2, v9
	s_or_b64 vcc, s[2:3], vcc
	v_addc_co_u32_e32 v9, vcc, 0, v9, vcc
	v_cmp_gt_i32_e32 vcc, 31, v10
	v_lshrrev_b32_e32 v13, 16, v3
	v_cndmask_b32_e32 v12, v2, v9, vcc
	v_mul_f16_sdwa v9, v45, v13 dst_sel:DWORD dst_unused:UNUSED_PAD src0_sel:WORD_1 src1_sel:DWORD
	v_fma_f16 v9, v45, v3, v9
	v_cvt_f32_f16_e32 v9, v9
	v_cmp_ne_u32_e32 vcc, 0, v8
	v_cndmask_b32_e64 v8, 0, 1, vcc
	v_lshl_or_b32 v14, v8, 9, v2
	v_cvt_f64_f32_e32 v[8:9], v9
	v_cmp_eq_u32_e32 vcc, s14, v10
	v_cndmask_b32_e32 v10, v12, v14, vcc
	v_lshrrev_b32_e32 v11, 16, v11
	v_mul_f64 v[8:9], v[8:9], s[12:13]
	v_and_or_b32 v10, v11, s15, v10
	v_and_b32_e32 v6, 0xffff, v6
	v_add_co_u32_e32 v4, vcc, s6, v4
	v_lshl_or_b32 v6, v10, 16, v6
	v_addc_co_u32_e32 v5, vcc, v5, v1, vcc
	global_store_dword v[4:5], v6, off
	v_and_or_b32 v6, v9, s10, v8
	v_cmp_ne_u32_e32 vcc, 0, v6
	v_cndmask_b32_e64 v6, 0, 1, vcc
	v_lshrrev_b32_e32 v8, 8, v9
	v_bfe_u32 v10, v9, 20, 11
	v_and_or_b32 v6, v8, s11, v6
	v_sub_u32_e32 v11, 0x3f1, v10
	v_or_b32_e32 v8, 0x1000, v6
	v_med3_i32 v11, v11, 0, 13
	v_lshrrev_b32_e32 v12, v11, v8
	v_lshlrev_b32_e32 v11, v11, v12
	v_cmp_ne_u32_e32 vcc, v11, v8
	v_mul_f16_sdwa v3, v45, v3 dst_sel:DWORD dst_unused:UNUSED_PAD src0_sel:WORD_1 src1_sel:DWORD
	v_cndmask_b32_e64 v8, 0, 1, vcc
	v_fma_f16 v3, v45, v13, -v3
	v_or_b32_e32 v8, v12, v8
	v_add_u32_e32 v12, 0xfffffc10, v10
	v_cvt_f32_f16_e32 v3, v3
	v_lshl_or_b32 v10, v12, 12, v6
	v_cmp_gt_i32_e32 vcc, 1, v12
	v_cndmask_b32_e32 v8, v10, v8, vcc
	v_and_b32_e32 v10, 7, v8
	v_cmp_lt_i32_e32 vcc, 5, v10
	v_cmp_eq_u32_e64 s[2:3], 3, v10
	v_cvt_f64_f32_e32 v[10:11], v3
	v_lshrrev_b32_e32 v8, 2, v8
	s_or_b64 vcc, s[2:3], vcc
	v_addc_co_u32_e32 v3, vcc, 0, v8, vcc
	v_mul_f64 v[10:11], v[10:11], s[12:13]
	v_cmp_gt_i32_e32 vcc, 31, v12
	v_cndmask_b32_e32 v3, v2, v3, vcc
	v_cmp_ne_u32_e32 vcc, 0, v6
	v_cndmask_b32_e64 v6, 0, 1, vcc
	v_lshl_or_b32 v6, v6, 9, v2
	v_cmp_eq_u32_e32 vcc, s14, v12
	v_cndmask_b32_e32 v3, v3, v6, vcc
	v_lshrrev_b32_e32 v6, 16, v9
	v_and_or_b32 v6, v6, s15, v3
	v_and_or_b32 v3, v11, s10, v10
	v_cmp_ne_u32_e32 vcc, 0, v3
	v_cndmask_b32_e64 v3, 0, 1, vcc
	v_lshrrev_b32_e32 v8, 8, v11
	v_bfe_u32 v9, v11, 20, 11
	v_and_or_b32 v3, v8, s11, v3
	v_sub_u32_e32 v10, 0x3f1, v9
	v_or_b32_e32 v8, 0x1000, v3
	v_med3_i32 v10, v10, 0, 13
	v_lshrrev_b32_e32 v12, v10, v8
	v_lshlrev_b32_e32 v10, v10, v12
	v_cmp_ne_u32_e32 vcc, v10, v8
	v_cndmask_b32_e64 v8, 0, 1, vcc
	v_add_u32_e32 v10, 0xfffffc10, v9
	v_or_b32_e32 v8, v12, v8
	v_lshl_or_b32 v9, v10, 12, v3
	v_cmp_gt_i32_e32 vcc, 1, v10
	v_cndmask_b32_e32 v8, v9, v8, vcc
	v_and_b32_e32 v9, 7, v8
	v_cmp_lt_i32_e32 vcc, 5, v9
	v_cmp_eq_u32_e64 s[2:3], 3, v9
	v_lshrrev_b32_e32 v8, 2, v8
	s_or_b64 vcc, s[2:3], vcc
	v_addc_co_u32_e32 v8, vcc, 0, v8, vcc
	v_cmp_gt_i32_e32 vcc, 31, v10
	v_cndmask_b32_e32 v12, v2, v8, vcc
	v_cmp_ne_u32_e32 vcc, 0, v3
	v_cndmask_b32_e64 v3, 0, 1, vcc
	v_lshl_or_b32 v13, v3, 9, v2
	v_add_u32_e32 v3, 0x200, v39
	ds_read2_b32 v[8:9], v3 offset0:106 offset1:160
	v_cmp_eq_u32_e32 vcc, s14, v10
	v_cndmask_b32_e32 v10, v12, v13, vcc
	v_lshrrev_b32_e32 v11, 16, v11
	v_and_or_b32 v12, v11, s15, v10
	s_waitcnt lgkmcnt(0)
	v_lshrrev_b32_e32 v13, 16, v8
	v_mul_f16_sdwa v10, v44, v13 dst_sel:DWORD dst_unused:UNUSED_PAD src0_sel:WORD_1 src1_sel:DWORD
	v_fma_f16 v10, v44, v8, v10
	v_cvt_f32_f16_e32 v10, v10
	s_mul_hi_u32 s3, s8, 0xfffffece
	s_mul_i32 s2, s9, 0xfffffece
	s_sub_i32 s3, s3, s8
	v_cvt_f64_f32_e32 v[10:11], v10
	s_add_i32 s3, s3, s2
	s_mul_i32 s2, s8, 0xfffffece
	s_lshl_b64 s[4:5], s[2:3], 2
	v_mul_f64 v[10:11], v[10:11], s[12:13]
	v_and_b32_e32 v6, 0xffff, v6
	v_mov_b32_e32 v14, s5
	v_add_co_u32_e32 v4, vcc, s4, v4
	v_lshl_or_b32 v6, v12, 16, v6
	v_addc_co_u32_e32 v5, vcc, v5, v14, vcc
	global_store_dword v[4:5], v6, off
	v_and_or_b32 v6, v11, s10, v10
	v_cmp_ne_u32_e32 vcc, 0, v6
	v_cndmask_b32_e64 v6, 0, 1, vcc
	v_lshrrev_b32_e32 v10, 8, v11
	v_bfe_u32 v12, v11, 20, 11
	v_and_or_b32 v6, v10, s11, v6
	v_sub_u32_e32 v15, 0x3f1, v12
	v_or_b32_e32 v10, 0x1000, v6
	v_med3_i32 v15, v15, 0, 13
	v_lshrrev_b32_e32 v18, v15, v10
	v_lshlrev_b32_e32 v15, v15, v18
	v_mul_f16_sdwa v8, v44, v8 dst_sel:DWORD dst_unused:UNUSED_PAD src0_sel:WORD_1 src1_sel:DWORD
	v_cmp_ne_u32_e32 vcc, v15, v10
	v_fma_f16 v8, v44, v13, -v8
	v_cndmask_b32_e64 v10, 0, 1, vcc
	v_add_u32_e32 v15, 0xfffffc10, v12
	v_cvt_f32_f16_e32 v8, v8
	v_or_b32_e32 v10, v18, v10
	v_lshl_or_b32 v12, v15, 12, v6
	v_cmp_gt_i32_e32 vcc, 1, v15
	v_cndmask_b32_e32 v10, v12, v10, vcc
	v_and_b32_e32 v12, 7, v10
	v_cmp_lt_i32_e32 vcc, 5, v12
	v_cmp_eq_u32_e64 s[2:3], 3, v12
	v_cvt_f64_f32_e32 v[12:13], v8
	v_lshrrev_b32_e32 v10, 2, v10
	s_or_b64 vcc, s[2:3], vcc
	v_addc_co_u32_e32 v8, vcc, 0, v10, vcc
	v_mul_f64 v[12:13], v[12:13], s[12:13]
	v_cmp_gt_i32_e32 vcc, 31, v15
	v_cndmask_b32_e32 v8, v2, v8, vcc
	v_cmp_ne_u32_e32 vcc, 0, v6
	v_cndmask_b32_e64 v6, 0, 1, vcc
	v_lshl_or_b32 v6, v6, 9, v2
	v_cmp_eq_u32_e32 vcc, s14, v15
	v_cndmask_b32_e32 v6, v8, v6, vcc
	v_lshrrev_b32_e32 v8, 16, v11
	v_and_or_b32 v6, v8, s15, v6
	v_and_or_b32 v8, v13, s10, v12
	v_cmp_ne_u32_e32 vcc, 0, v8
	v_cndmask_b32_e64 v8, 0, 1, vcc
	v_lshrrev_b32_e32 v10, 8, v13
	v_bfe_u32 v11, v13, 20, 11
	v_and_or_b32 v8, v10, s11, v8
	v_sub_u32_e32 v12, 0x3f1, v11
	v_or_b32_e32 v10, 0x1000, v8
	v_med3_i32 v12, v12, 0, 13
	v_lshrrev_b32_e32 v15, v12, v10
	v_lshlrev_b32_e32 v12, v12, v15
	v_cmp_ne_u32_e32 vcc, v12, v10
	v_cndmask_b32_e64 v10, 0, 1, vcc
	v_add_u32_e32 v12, 0xfffffc10, v11
	v_or_b32_e32 v10, v15, v10
	v_lshl_or_b32 v11, v12, 12, v8
	v_cmp_gt_i32_e32 vcc, 1, v12
	v_cndmask_b32_e32 v10, v11, v10, vcc
	v_and_b32_e32 v11, 7, v10
	v_cmp_lt_i32_e32 vcc, 5, v11
	v_cmp_eq_u32_e64 s[2:3], 3, v11
	v_lshrrev_b32_e32 v10, 2, v10
	s_or_b64 vcc, s[2:3], vcc
	v_addc_co_u32_e32 v10, vcc, 0, v10, vcc
	v_cmp_gt_i32_e32 vcc, 31, v12
	v_lshrrev_b32_e32 v18, 16, v7
	v_cndmask_b32_e32 v15, v2, v10, vcc
	v_mul_f16_sdwa v10, v43, v18 dst_sel:DWORD dst_unused:UNUSED_PAD src0_sel:WORD_1 src1_sel:DWORD
	v_fma_f16 v10, v43, v7, v10
	v_cvt_f32_f16_e32 v10, v10
	v_cmp_ne_u32_e32 vcc, 0, v8
	v_cndmask_b32_e64 v8, 0, 1, vcc
	v_lshl_or_b32 v8, v8, 9, v2
	v_cvt_f64_f32_e32 v[10:11], v10
	v_cmp_eq_u32_e32 vcc, s14, v12
	v_cndmask_b32_e32 v8, v15, v8, vcc
	v_lshrrev_b32_e32 v12, 16, v13
	v_mul_f64 v[10:11], v[10:11], s[12:13]
	v_and_or_b32 v8, v12, s15, v8
	v_and_b32_e32 v6, 0xffff, v6
	v_add_co_u32_e32 v4, vcc, s6, v4
	v_lshl_or_b32 v6, v8, 16, v6
	v_addc_co_u32_e32 v5, vcc, v5, v1, vcc
	global_store_dword v[4:5], v6, off
	v_and_or_b32 v6, v11, s10, v10
	v_cmp_ne_u32_e32 vcc, 0, v6
	v_cndmask_b32_e64 v6, 0, 1, vcc
	v_lshrrev_b32_e32 v8, 8, v11
	v_bfe_u32 v10, v11, 20, 11
	v_and_or_b32 v8, v8, s11, v6
	v_sub_u32_e32 v12, 0x3f1, v10
	v_or_b32_e32 v6, 0x1000, v8
	v_med3_i32 v12, v12, 0, 13
	v_lshrrev_b32_e32 v13, v12, v6
	v_lshlrev_b32_e32 v12, v12, v13
	v_mul_f16_sdwa v7, v43, v7 dst_sel:DWORD dst_unused:UNUSED_PAD src0_sel:WORD_1 src1_sel:DWORD
	v_cmp_ne_u32_e32 vcc, v12, v6
	v_fma_f16 v7, v43, v18, -v7
	v_cndmask_b32_e64 v6, 0, 1, vcc
	v_add_u32_e32 v10, 0xfffffc10, v10
	v_cvt_f32_f16_e32 v7, v7
	v_or_b32_e32 v6, v13, v6
	v_lshl_or_b32 v12, v10, 12, v8
	v_cmp_gt_i32_e32 vcc, 1, v10
	v_cndmask_b32_e32 v6, v12, v6, vcc
	v_and_b32_e32 v12, 7, v6
	v_cmp_lt_i32_e32 vcc, 5, v12
	v_cmp_eq_u32_e64 s[2:3], 3, v12
	v_lshrrev_b32_e32 v12, 2, v6
	v_cvt_f64_f32_e32 v[6:7], v7
	s_or_b64 vcc, s[2:3], vcc
	v_addc_co_u32_e32 v12, vcc, 0, v12, vcc
	v_mul_f64 v[6:7], v[6:7], s[12:13]
	v_cmp_gt_i32_e32 vcc, 31, v10
	v_cndmask_b32_e32 v12, v2, v12, vcc
	v_cmp_ne_u32_e32 vcc, 0, v8
	v_cndmask_b32_e64 v8, 0, 1, vcc
	v_lshl_or_b32 v8, v8, 9, v2
	v_cmp_eq_u32_e32 vcc, s14, v10
	v_cndmask_b32_e32 v8, v12, v8, vcc
	v_and_or_b32 v6, v7, s10, v6
	v_lshrrev_b32_e32 v10, 16, v11
	v_cmp_ne_u32_e32 vcc, 0, v6
	v_and_or_b32 v8, v10, s15, v8
	v_cndmask_b32_e64 v6, 0, 1, vcc
	v_lshrrev_b32_e32 v10, 8, v7
	v_bfe_u32 v11, v7, 20, 11
	v_and_or_b32 v6, v10, s11, v6
	v_sub_u32_e32 v12, 0x3f1, v11
	v_or_b32_e32 v10, 0x1000, v6
	v_med3_i32 v12, v12, 0, 13
	v_lshrrev_b32_e32 v13, v12, v10
	v_lshlrev_b32_e32 v12, v12, v13
	v_cmp_ne_u32_e32 vcc, v12, v10
	v_cndmask_b32_e64 v10, 0, 1, vcc
	v_add_u32_e32 v12, 0xfffffc10, v11
	v_or_b32_e32 v10, v13, v10
	v_lshl_or_b32 v11, v12, 12, v6
	v_cmp_gt_i32_e32 vcc, 1, v12
	v_cndmask_b32_e32 v10, v11, v10, vcc
	v_and_b32_e32 v11, 7, v10
	v_cmp_lt_i32_e32 vcc, 5, v11
	v_cmp_eq_u32_e64 s[2:3], 3, v11
	v_lshrrev_b32_e32 v10, 2, v10
	s_or_b64 vcc, s[2:3], vcc
	v_addc_co_u32_e32 v10, vcc, 0, v10, vcc
	v_cmp_gt_i32_e32 vcc, 31, v12
	v_lshrrev_b32_e32 v15, 16, v0
	v_cndmask_b32_e32 v13, v2, v10, vcc
	v_mul_f16_sdwa v10, v42, v15 dst_sel:DWORD dst_unused:UNUSED_PAD src0_sel:WORD_1 src1_sel:DWORD
	v_fma_f16 v10, v42, v0, v10
	v_cvt_f32_f16_e32 v10, v10
	v_cmp_ne_u32_e32 vcc, 0, v6
	v_cndmask_b32_e64 v6, 0, 1, vcc
	v_lshl_or_b32 v6, v6, 9, v2
	v_cvt_f64_f32_e32 v[10:11], v10
	v_cmp_eq_u32_e32 vcc, s14, v12
	v_cndmask_b32_e32 v6, v13, v6, vcc
	v_lshrrev_b32_e32 v7, 16, v7
	v_and_or_b32 v12, v7, s15, v6
	v_mul_f64 v[6:7], v[10:11], s[12:13]
	v_add_co_u32_e32 v4, vcc, s6, v4
	v_and_b32_e32 v8, 0xffff, v8
	v_addc_co_u32_e32 v5, vcc, v5, v1, vcc
	v_lshl_or_b32 v8, v12, 16, v8
	global_store_dword v[4:5], v8, off
	v_and_or_b32 v6, v7, s10, v6
	v_cmp_ne_u32_e32 vcc, 0, v6
	v_cndmask_b32_e64 v6, 0, 1, vcc
	v_lshrrev_b32_e32 v8, 8, v7
	v_bfe_u32 v10, v7, 20, 11
	v_and_or_b32 v6, v8, s11, v6
	v_sub_u32_e32 v11, 0x3f1, v10
	v_or_b32_e32 v8, 0x1000, v6
	v_med3_i32 v11, v11, 0, 13
	v_lshrrev_b32_e32 v12, v11, v8
	v_lshlrev_b32_e32 v11, v11, v12
	v_cmp_ne_u32_e32 vcc, v11, v8
	v_mul_f16_sdwa v0, v42, v0 dst_sel:DWORD dst_unused:UNUSED_PAD src0_sel:WORD_1 src1_sel:DWORD
	v_cndmask_b32_e64 v8, 0, 1, vcc
	v_fma_f16 v0, v42, v15, -v0
	v_or_b32_e32 v8, v12, v8
	v_add_u32_e32 v12, 0xfffffc10, v10
	v_cvt_f32_f16_e32 v0, v0
	v_lshl_or_b32 v10, v12, 12, v6
	v_cmp_gt_i32_e32 vcc, 1, v12
	v_cndmask_b32_e32 v8, v10, v8, vcc
	v_and_b32_e32 v10, 7, v8
	v_cmp_lt_i32_e32 vcc, 5, v10
	v_cmp_eq_u32_e64 s[2:3], 3, v10
	v_cvt_f64_f32_e32 v[10:11], v0
	v_lshrrev_b32_e32 v8, 2, v8
	s_or_b64 vcc, s[2:3], vcc
	v_addc_co_u32_e32 v0, vcc, 0, v8, vcc
	v_mul_f64 v[10:11], v[10:11], s[12:13]
	v_cmp_gt_i32_e32 vcc, 31, v12
	v_cndmask_b32_e32 v0, v2, v0, vcc
	v_cmp_ne_u32_e32 vcc, 0, v6
	v_cndmask_b32_e64 v6, 0, 1, vcc
	v_lshl_or_b32 v6, v6, 9, v2
	v_cmp_eq_u32_e32 vcc, s14, v12
	v_cndmask_b32_e32 v0, v0, v6, vcc
	v_lshrrev_b32_e32 v6, 16, v7
	v_and_or_b32 v0, v6, s15, v0
	v_and_or_b32 v6, v11, s10, v10
	v_cmp_ne_u32_e32 vcc, 0, v6
	v_cndmask_b32_e64 v6, 0, 1, vcc
	v_lshrrev_b32_e32 v7, 8, v11
	v_bfe_u32 v8, v11, 20, 11
	v_and_or_b32 v6, v7, s11, v6
	v_sub_u32_e32 v10, 0x3f1, v8
	v_or_b32_e32 v7, 0x1000, v6
	v_med3_i32 v10, v10, 0, 13
	v_lshrrev_b32_e32 v12, v10, v7
	v_lshlrev_b32_e32 v10, v10, v12
	v_cmp_ne_u32_e32 vcc, v10, v7
	v_cndmask_b32_e64 v7, 0, 1, vcc
	v_add_u32_e32 v8, 0xfffffc10, v8
	v_or_b32_e32 v7, v12, v7
	v_lshl_or_b32 v10, v8, 12, v6
	v_cmp_gt_i32_e32 vcc, 1, v8
	v_cndmask_b32_e32 v7, v10, v7, vcc
	v_and_b32_e32 v10, 7, v7
	v_cmp_lt_i32_e32 vcc, 5, v10
	v_cmp_eq_u32_e64 s[2:3], 3, v10
	v_lshrrev_b32_e32 v7, 2, v7
	s_or_b64 vcc, s[2:3], vcc
	v_addc_co_u32_e32 v7, vcc, 0, v7, vcc
	v_cmp_gt_i32_e32 vcc, 31, v8
	v_lshrrev_b32_e32 v12, 16, v9
	v_cndmask_b32_e32 v10, v2, v7, vcc
	v_mul_f16_sdwa v7, v41, v12 dst_sel:DWORD dst_unused:UNUSED_PAD src0_sel:WORD_1 src1_sel:DWORD
	v_fma_f16 v7, v41, v9, v7
	v_cvt_f32_f16_e32 v7, v7
	v_cmp_ne_u32_e32 vcc, 0, v6
	v_cndmask_b32_e64 v6, 0, 1, vcc
	v_lshl_or_b32 v13, v6, 9, v2
	v_cvt_f64_f32_e32 v[6:7], v7
	v_cmp_eq_u32_e32 vcc, s14, v8
	v_cndmask_b32_e32 v8, v10, v13, vcc
	v_lshrrev_b32_e32 v10, 16, v11
	v_mul_f64 v[6:7], v[6:7], s[12:13]
	v_and_or_b32 v8, v10, s15, v8
	v_and_b32_e32 v0, 0xffff, v0
	v_add_co_u32_e32 v4, vcc, s4, v4
	v_lshl_or_b32 v0, v8, 16, v0
	v_addc_co_u32_e32 v5, vcc, v5, v14, vcc
	global_store_dword v[4:5], v0, off
	v_and_or_b32 v0, v7, s10, v6
	v_cmp_ne_u32_e32 vcc, 0, v0
	v_cndmask_b32_e64 v0, 0, 1, vcc
	v_lshrrev_b32_e32 v6, 8, v7
	v_bfe_u32 v8, v7, 20, 11
	v_and_or_b32 v0, v6, s11, v0
	v_sub_u32_e32 v10, 0x3f1, v8
	v_or_b32_e32 v6, 0x1000, v0
	v_med3_i32 v10, v10, 0, 13
	v_lshrrev_b32_e32 v11, v10, v6
	v_lshlrev_b32_e32 v10, v10, v11
	v_mul_f16_sdwa v9, v41, v9 dst_sel:DWORD dst_unused:UNUSED_PAD src0_sel:WORD_1 src1_sel:DWORD
	v_cmp_ne_u32_e32 vcc, v10, v6
	v_fma_f16 v9, v41, v12, -v9
	v_cndmask_b32_e64 v6, 0, 1, vcc
	v_add_u32_e32 v10, 0xfffffc10, v8
	v_cvt_f32_f16_e32 v9, v9
	v_or_b32_e32 v6, v11, v6
	v_lshl_or_b32 v8, v10, 12, v0
	v_cmp_gt_i32_e32 vcc, 1, v10
	v_cndmask_b32_e32 v6, v8, v6, vcc
	v_and_b32_e32 v8, 7, v6
	v_cmp_lt_i32_e32 vcc, 5, v8
	v_cmp_eq_u32_e64 s[2:3], 3, v8
	v_cvt_f64_f32_e32 v[8:9], v9
	v_lshrrev_b32_e32 v6, 2, v6
	s_or_b64 vcc, s[2:3], vcc
	v_addc_co_u32_e32 v6, vcc, 0, v6, vcc
	v_mul_f64 v[8:9], v[8:9], s[12:13]
	v_cmp_gt_i32_e32 vcc, 31, v10
	v_cndmask_b32_e32 v6, v2, v6, vcc
	v_cmp_ne_u32_e32 vcc, 0, v0
	v_cndmask_b32_e64 v0, 0, 1, vcc
	v_lshl_or_b32 v0, v0, 9, v2
	v_cmp_eq_u32_e32 vcc, s14, v10
	v_cndmask_b32_e32 v0, v6, v0, vcc
	v_lshrrev_b32_e32 v6, 16, v7
	v_and_or_b32 v0, v6, s15, v0
	v_and_or_b32 v6, v9, s10, v8
	v_cmp_ne_u32_e32 vcc, 0, v6
	v_cndmask_b32_e64 v6, 0, 1, vcc
	v_lshrrev_b32_e32 v7, 8, v9
	v_bfe_u32 v8, v9, 20, 11
	v_and_or_b32 v6, v7, s11, v6
	v_sub_u32_e32 v10, 0x3f1, v8
	v_or_b32_e32 v7, 0x1000, v6
	v_med3_i32 v10, v10, 0, 13
	v_lshrrev_b32_e32 v11, v10, v7
	v_lshlrev_b32_e32 v10, v10, v11
	v_cmp_ne_u32_e32 vcc, v10, v7
	v_cndmask_b32_e64 v7, 0, 1, vcc
	v_add_u32_e32 v8, 0xfffffc10, v8
	v_or_b32_e32 v7, v11, v7
	v_lshl_or_b32 v10, v8, 12, v6
	v_cmp_gt_i32_e32 vcc, 1, v8
	v_cndmask_b32_e32 v7, v10, v7, vcc
	v_and_b32_e32 v10, 7, v7
	v_cmp_lt_i32_e32 vcc, 5, v10
	v_cmp_eq_u32_e64 s[2:3], 3, v10
	ds_read_b32 v10, v39 offset:1872
	v_lshrrev_b32_e32 v7, 2, v7
	s_or_b64 vcc, s[2:3], vcc
	v_addc_co_u32_e32 v7, vcc, 0, v7, vcc
	v_cmp_gt_i32_e32 vcc, 31, v8
	s_waitcnt lgkmcnt(0)
	v_lshrrev_b32_e32 v12, 16, v10
	v_cndmask_b32_e32 v11, v2, v7, vcc
	v_mul_f16_sdwa v7, v40, v12 dst_sel:DWORD dst_unused:UNUSED_PAD src0_sel:WORD_1 src1_sel:DWORD
	v_fma_f16 v7, v40, v10, v7
	v_cvt_f32_f16_e32 v7, v7
	v_cmp_ne_u32_e32 vcc, 0, v6
	v_cndmask_b32_e64 v6, 0, 1, vcc
	v_lshl_or_b32 v13, v6, 9, v2
	v_cvt_f64_f32_e32 v[6:7], v7
	v_cmp_eq_u32_e32 vcc, s14, v8
	v_cndmask_b32_e32 v8, v11, v13, vcc
	v_lshrrev_b32_e32 v9, 16, v9
	v_mul_f64 v[6:7], v[6:7], s[12:13]
	v_and_or_b32 v8, v9, s15, v8
	v_and_b32_e32 v0, 0xffff, v0
	v_add_co_u32_e32 v4, vcc, s6, v4
	v_lshl_or_b32 v0, v8, 16, v0
	v_addc_co_u32_e32 v5, vcc, v5, v1, vcc
	global_store_dword v[4:5], v0, off
	v_and_or_b32 v0, v7, s10, v6
	v_cmp_ne_u32_e32 vcc, 0, v0
	v_cndmask_b32_e64 v0, 0, 1, vcc
	v_lshrrev_b32_e32 v6, 8, v7
	v_bfe_u32 v8, v7, 20, 11
	v_and_or_b32 v0, v6, s11, v0
	v_sub_u32_e32 v9, 0x3f1, v8
	v_or_b32_e32 v6, 0x1000, v0
	v_med3_i32 v9, v9, 0, 13
	v_lshrrev_b32_e32 v11, v9, v6
	v_lshlrev_b32_e32 v9, v9, v11
	v_cmp_ne_u32_e32 vcc, v9, v6
	v_mul_f16_sdwa v9, v40, v10 dst_sel:DWORD dst_unused:UNUSED_PAD src0_sel:WORD_1 src1_sel:DWORD
	v_cndmask_b32_e64 v6, 0, 1, vcc
	v_fma_f16 v9, v40, v12, -v9
	v_or_b32_e32 v6, v11, v6
	v_add_u32_e32 v11, 0xfffffc10, v8
	v_cvt_f32_f16_e32 v9, v9
	v_lshl_or_b32 v8, v11, 12, v0
	v_cmp_gt_i32_e32 vcc, 1, v11
	v_cndmask_b32_e32 v6, v8, v6, vcc
	v_and_b32_e32 v8, 7, v6
	v_cmp_lt_i32_e32 vcc, 5, v8
	v_cmp_eq_u32_e64 s[2:3], 3, v8
	v_cvt_f64_f32_e32 v[8:9], v9
	v_lshrrev_b32_e32 v6, 2, v6
	s_or_b64 vcc, s[2:3], vcc
	v_addc_co_u32_e32 v6, vcc, 0, v6, vcc
	v_mul_f64 v[8:9], v[8:9], s[12:13]
	v_cmp_gt_i32_e32 vcc, 31, v11
	v_cndmask_b32_e32 v6, v2, v6, vcc
	v_cmp_ne_u32_e32 vcc, 0, v0
	v_cndmask_b32_e64 v0, 0, 1, vcc
	v_lshl_or_b32 v0, v0, 9, v2
	v_cmp_eq_u32_e32 vcc, s14, v11
	v_cndmask_b32_e32 v0, v6, v0, vcc
	v_lshrrev_b32_e32 v6, 16, v7
	v_and_or_b32 v0, v6, s15, v0
	v_and_or_b32 v6, v9, s10, v8
	v_cmp_ne_u32_e32 vcc, 0, v6
	v_cndmask_b32_e64 v6, 0, 1, vcc
	v_lshrrev_b32_e32 v7, 8, v9
	v_bfe_u32 v8, v9, 20, 11
	v_and_or_b32 v6, v7, s11, v6
	v_sub_u32_e32 v10, 0x3f1, v8
	v_or_b32_e32 v7, 0x1000, v6
	v_med3_i32 v10, v10, 0, 13
	v_lshrrev_b32_e32 v11, v10, v7
	v_lshlrev_b32_e32 v10, v10, v11
	v_cmp_ne_u32_e32 vcc, v10, v7
	v_cndmask_b32_e64 v7, 0, 1, vcc
	v_add_u32_e32 v8, 0xfffffc10, v8
	v_or_b32_e32 v7, v11, v7
	v_lshl_or_b32 v10, v8, 12, v6
	v_cmp_gt_i32_e32 vcc, 1, v8
	v_cndmask_b32_e32 v7, v10, v7, vcc
	v_and_b32_e32 v10, 7, v7
	v_cmp_lt_i32_e32 vcc, 5, v10
	v_cmp_eq_u32_e64 s[2:3], 3, v10
	v_lshrrev_b32_e32 v7, 2, v7
	s_or_b64 vcc, s[2:3], vcc
	v_addc_co_u32_e32 v7, vcc, 0, v7, vcc
	v_cmp_gt_i32_e32 vcc, 31, v8
	v_cndmask_b32_e32 v7, v2, v7, vcc
	v_cmp_ne_u32_e32 vcc, 0, v6
	v_cndmask_b32_e64 v6, 0, 1, vcc
	v_lshl_or_b32 v6, v6, 9, v2
	v_cmp_eq_u32_e32 vcc, s14, v8
	v_cndmask_b32_e32 v6, v7, v6, vcc
	v_lshrrev_b32_e32 v7, 16, v9
	v_and_or_b32 v6, v7, s15, v6
	v_and_b32_e32 v0, 0xffff, v0
	v_lshl_or_b32 v6, v6, 16, v0
	v_add_co_u32_e32 v0, vcc, s6, v4
	v_addc_co_u32_e32 v1, vcc, v5, v1, vcc
	global_store_dword v[0:1], v6, off
	s_and_b64 exec, exec, s[0:1]
	s_cbranch_execz .LBB0_31
; %bb.30:
	global_load_dword v5, v[16:17], off offset:648
	global_load_dword v11, v[16:17], off offset:1368
	ds_read2_b32 v[3:4], v3 offset0:34 offset1:214
	global_load_dword v12, v[16:17], off offset:2088
	v_mov_b32_e32 v14, s5
	v_add_co_u32_e32 v0, vcc, s4, v0
	s_waitcnt lgkmcnt(0)
	v_lshrrev_b32_e32 v6, 16, v3
	v_lshrrev_b32_e32 v13, 16, v4
	v_addc_co_u32_e32 v1, vcc, v1, v14, vcc
	s_waitcnt vmcnt(2)
	v_mul_f16_sdwa v7, v6, v5 dst_sel:DWORD dst_unused:UNUSED_PAD src0_sel:DWORD src1_sel:WORD_1
	v_mul_f16_sdwa v8, v3, v5 dst_sel:DWORD dst_unused:UNUSED_PAD src0_sel:DWORD src1_sel:WORD_1
	v_fma_f16 v3, v3, v5, v7
	v_cvt_f32_f16_e32 v3, v3
	s_waitcnt vmcnt(1)
	v_mul_f16_sdwa v9, v13, v11 dst_sel:DWORD dst_unused:UNUSED_PAD src0_sel:DWORD src1_sel:WORD_1
	v_fma_f16 v5, v5, v6, -v8
	v_cvt_f32_f16_e32 v7, v5
	v_fma_f16 v8, v4, v11, v9
	v_cvt_f64_f32_e32 v[5:6], v3
	v_cvt_f32_f16_e32 v3, v8
	v_cvt_f64_f32_e32 v[7:8], v7
	v_mul_f64 v[5:6], v[5:6], s[12:13]
	v_cvt_f64_f32_e32 v[9:10], v3
	v_mul_f64 v[7:8], v[7:8], s[12:13]
	v_mul_f64 v[9:10], v[9:10], s[12:13]
	v_and_or_b32 v3, v6, s10, v5
	v_cmp_ne_u32_e32 vcc, 0, v3
	v_and_or_b32 v7, v8, s10, v7
	v_lshrrev_b32_e32 v5, 8, v6
	v_bfe_u32 v14, v6, 20, 11
	v_and_or_b32 v9, v10, s10, v9
	v_cndmask_b32_e64 v3, 0, 1, vcc
	v_cmp_ne_u32_e32 vcc, 0, v7
	v_lshrrev_b32_e32 v15, 8, v8
	v_bfe_u32 v16, v8, 20, 11
	v_bfe_u32 v18, v10, 20, 11
	v_sub_u32_e32 v19, 0x3f1, v14
	v_cndmask_b32_e64 v7, 0, 1, vcc
	v_cmp_ne_u32_e32 vcc, 0, v9
	v_and_or_b32 v3, v5, s11, v3
	v_lshrrev_b32_e32 v17, 8, v10
	v_sub_u32_e32 v20, 0x3f1, v16
	v_cndmask_b32_e64 v9, 0, 1, vcc
	v_sub_u32_e32 v21, 0x3f1, v18
	v_med3_i32 v5, v19, 0, 13
	v_and_or_b32 v7, v15, s11, v7
	v_or_b32_e32 v19, 0x1000, v3
	v_add_u32_e32 v14, 0xfffffc10, v14
	v_med3_i32 v15, v20, 0, 13
	v_and_or_b32 v9, v17, s11, v9
	v_med3_i32 v17, v21, 0, 13
	v_cmp_ne_u32_e32 vcc, 0, v3
	v_or_b32_e32 v21, 0x1000, v7
	v_lshrrev_b32_e32 v25, v5, v19
	v_add_u32_e32 v16, 0xfffffc10, v16
	v_lshl_or_b32 v20, v14, 12, v3
	v_cndmask_b32_e64 v3, 0, 1, vcc
	v_cmp_ne_u32_e32 vcc, 0, v7
	v_or_b32_e32 v23, 0x1000, v9
	v_lshrrev_b32_e32 v26, v15, v21
	v_lshlrev_b32_e32 v5, v5, v25
	v_lshl_or_b32 v22, v16, 12, v7
	v_cndmask_b32_e64 v7, 0, 1, vcc
	v_lshrrev_b32_e32 v27, v17, v23
	v_lshlrev_b32_e32 v15, v15, v26
	v_cmp_ne_u32_e32 vcc, v5, v19
	v_lshlrev_b32_e32 v17, v17, v27
	v_cndmask_b32_e64 v5, 0, 1, vcc
	v_cmp_ne_u32_e32 vcc, v15, v21
	v_cndmask_b32_e64 v15, 0, 1, vcc
	v_cmp_ne_u32_e32 vcc, v17, v23
	v_cndmask_b32_e64 v17, 0, 1, vcc
	v_or_b32_e32 v5, v25, v5
	v_cmp_gt_i32_e32 vcc, 1, v14
	v_add_u32_e32 v18, 0xfffffc10, v18
	v_or_b32_e32 v15, v26, v15
	v_cndmask_b32_e32 v5, v20, v5, vcc
	v_cmp_gt_i32_e32 vcc, 1, v16
	v_lshl_or_b32 v24, v18, 12, v9
	v_or_b32_e32 v17, v27, v17
	v_cndmask_b32_e32 v15, v22, v15, vcc
	v_cmp_gt_i32_e32 vcc, 1, v18
	v_and_b32_e32 v19, 7, v5
	v_cndmask_b32_e32 v17, v24, v17, vcc
	v_cmp_lt_i32_e32 vcc, 5, v19
	v_cmp_eq_u32_e64 s[0:1], 3, v19
	v_lshrrev_b32_e32 v5, 2, v5
	v_and_b32_e32 v20, 7, v15
	s_or_b64 vcc, s[0:1], vcc
	v_cmp_lt_i32_e64 s[2:3], 5, v20
	v_cmp_eq_u32_e64 s[4:5], 3, v20
	v_addc_co_u32_e32 v5, vcc, 0, v5, vcc
	v_lshrrev_b32_e32 v15, 2, v15
	s_or_b64 vcc, s[4:5], s[2:3]
	v_addc_co_u32_e32 v15, vcc, 0, v15, vcc
	v_cmp_gt_i32_e32 vcc, 31, v14
	v_cndmask_b32_e32 v5, v2, v5, vcc
	v_cmp_gt_i32_e32 vcc, 31, v16
	v_lshl_or_b32 v3, v3, 9, v2
	v_cndmask_b32_e32 v15, v2, v15, vcc
	v_cmp_eq_u32_e32 vcc, s14, v14
	v_lshrrev_b32_e32 v6, 16, v6
	v_lshl_or_b32 v7, v7, 9, v2
	v_cndmask_b32_e32 v3, v5, v3, vcc
	v_cmp_eq_u32_e32 vcc, s14, v16
	v_lshrrev_b32_e32 v8, 16, v8
	v_cndmask_b32_e32 v5, v15, v7, vcc
	v_and_or_b32 v3, v6, s15, v3
	v_and_or_b32 v5, v8, s15, v5
	v_and_b32_e32 v3, 0xffff, v3
	v_lshl_or_b32 v3, v5, 16, v3
	global_store_dword v[0:1], v3, off
	v_mul_f16_sdwa v3, v4, v11 dst_sel:DWORD dst_unused:UNUSED_PAD src0_sel:DWORD src1_sel:WORD_1
	v_fma_f16 v3, v11, v13, -v3
	v_cvt_f32_f16_e32 v3, v3
	v_and_b32_e32 v21, 7, v17
	v_cmp_lt_i32_e32 vcc, 5, v21
	v_cmp_eq_u32_e64 s[0:1], 3, v21
	v_cvt_f64_f32_e32 v[3:4], v3
	v_lshrrev_b32_e32 v5, 2, v17
	s_or_b64 vcc, s[0:1], vcc
	v_addc_co_u32_e32 v5, vcc, 0, v5, vcc
	v_mul_f64 v[3:4], v[3:4], s[12:13]
	v_cmp_gt_i32_e32 vcc, 31, v18
	v_cndmask_b32_e32 v5, v2, v5, vcc
	v_cmp_ne_u32_e32 vcc, 0, v9
	v_cndmask_b32_e64 v6, 0, 1, vcc
	v_lshl_or_b32 v6, v6, 9, v2
	v_cmp_eq_u32_e32 vcc, s14, v18
	v_cndmask_b32_e32 v5, v5, v6, vcc
	v_and_or_b32 v3, v4, s10, v3
	v_lshrrev_b32_e32 v6, 16, v10
	v_cmp_ne_u32_e32 vcc, 0, v3
	v_and_or_b32 v7, v6, s15, v5
	v_cndmask_b32_e64 v3, 0, 1, vcc
	v_lshrrev_b32_e32 v5, 8, v4
	v_bfe_u32 v6, v4, 20, 11
	v_and_or_b32 v3, v5, s11, v3
	v_sub_u32_e32 v8, 0x3f1, v6
	v_or_b32_e32 v5, 0x1000, v3
	v_med3_i32 v8, v8, 0, 13
	v_lshrrev_b32_e32 v9, v8, v5
	v_lshlrev_b32_e32 v8, v8, v9
	v_cmp_ne_u32_e32 vcc, v8, v5
	v_cndmask_b32_e64 v5, 0, 1, vcc
	v_add_u32_e32 v6, 0xfffffc10, v6
	v_or_b32_e32 v5, v9, v5
	v_lshl_or_b32 v8, v6, 12, v3
	v_cmp_gt_i32_e32 vcc, 1, v6
	v_cndmask_b32_e32 v5, v8, v5, vcc
	v_and_b32_e32 v8, 7, v5
	v_cmp_lt_i32_e32 vcc, 5, v8
	v_cmp_eq_u32_e64 s[0:1], 3, v8
	ds_read_b32 v8, v39 offset:2088
	v_lshrrev_b32_e32 v5, 2, v5
	s_or_b64 vcc, s[0:1], vcc
	v_addc_co_u32_e32 v5, vcc, 0, v5, vcc
	s_waitcnt lgkmcnt(0)
	v_lshrrev_b32_e32 v9, 16, v8
	s_waitcnt vmcnt(1)
	v_mul_f16_sdwa v10, v9, v12 dst_sel:DWORD dst_unused:UNUSED_PAD src0_sel:DWORD src1_sel:WORD_1
	v_fma_f16 v10, v8, v12, v10
	v_cmp_gt_i32_e32 vcc, 31, v6
	v_cvt_f32_f16_e32 v10, v10
	v_cndmask_b32_e32 v5, v2, v5, vcc
	v_cmp_ne_u32_e32 vcc, 0, v3
	v_cndmask_b32_e64 v3, 0, 1, vcc
	v_lshl_or_b32 v3, v3, 9, v2
	v_cmp_eq_u32_e32 vcc, s14, v6
	v_cndmask_b32_e32 v3, v5, v3, vcc
	v_cvt_f64_f32_e32 v[5:6], v10
	v_lshrrev_b32_e32 v4, 16, v4
	v_and_or_b32 v10, v4, s15, v3
	v_and_b32_e32 v7, 0xffff, v7
	v_mul_f64 v[3:4], v[5:6], s[12:13]
	v_lshl_or_b32 v5, v10, 16, v7
	v_mov_b32_e32 v7, s7
	v_add_co_u32_e32 v0, vcc, s6, v0
	v_addc_co_u32_e32 v1, vcc, v1, v7, vcc
	global_store_dword v[0:1], v5, off
	v_and_or_b32 v3, v4, s10, v3
	v_cmp_ne_u32_e32 vcc, 0, v3
	v_cndmask_b32_e64 v3, 0, 1, vcc
	v_lshrrev_b32_e32 v5, 8, v4
	v_bfe_u32 v6, v4, 20, 11
	v_and_or_b32 v3, v5, s11, v3
	v_sub_u32_e32 v10, 0x3f1, v6
	v_or_b32_e32 v5, 0x1000, v3
	v_med3_i32 v10, v10, 0, 13
	v_lshrrev_b32_e32 v11, v10, v5
	v_lshlrev_b32_e32 v10, v10, v11
	v_mul_f16_sdwa v8, v8, v12 dst_sel:DWORD dst_unused:UNUSED_PAD src0_sel:DWORD src1_sel:WORD_1
	v_cmp_ne_u32_e32 vcc, v10, v5
	v_fma_f16 v8, v12, v9, -v8
	v_cndmask_b32_e64 v5, 0, 1, vcc
	v_add_u32_e32 v10, 0xfffffc10, v6
	v_cvt_f32_f16_e32 v8, v8
	v_or_b32_e32 v5, v11, v5
	v_lshl_or_b32 v6, v10, 12, v3
	v_cmp_gt_i32_e32 vcc, 1, v10
	v_cndmask_b32_e32 v5, v6, v5, vcc
	v_and_b32_e32 v6, 7, v5
	v_cmp_lt_i32_e32 vcc, 5, v6
	v_cmp_eq_u32_e64 s[0:1], 3, v6
	v_lshrrev_b32_e32 v9, 2, v5
	v_cvt_f64_f32_e32 v[5:6], v8
	s_or_b64 vcc, s[0:1], vcc
	v_addc_co_u32_e32 v8, vcc, 0, v9, vcc
	v_mul_f64 v[5:6], v[5:6], s[12:13]
	v_cmp_gt_i32_e32 vcc, 31, v10
	v_cndmask_b32_e32 v8, v2, v8, vcc
	v_cmp_ne_u32_e32 vcc, 0, v3
	v_cndmask_b32_e64 v3, 0, 1, vcc
	v_lshl_or_b32 v3, v3, 9, v2
	v_cmp_eq_u32_e32 vcc, s14, v10
	v_cndmask_b32_e32 v3, v8, v3, vcc
	v_lshrrev_b32_e32 v4, 16, v4
	v_and_or_b32 v3, v4, s15, v3
	v_and_or_b32 v4, v6, s10, v5
	v_cmp_ne_u32_e32 vcc, 0, v4
	v_cndmask_b32_e64 v4, 0, 1, vcc
	v_lshrrev_b32_e32 v5, 8, v6
	v_bfe_u32 v8, v6, 20, 11
	v_and_or_b32 v4, v5, s11, v4
	v_sub_u32_e32 v9, 0x3f1, v8
	v_or_b32_e32 v5, 0x1000, v4
	v_med3_i32 v9, v9, 0, 13
	v_lshrrev_b32_e32 v10, v9, v5
	v_lshlrev_b32_e32 v9, v9, v10
	v_cmp_ne_u32_e32 vcc, v9, v5
	v_cndmask_b32_e64 v5, 0, 1, vcc
	v_add_u32_e32 v8, 0xfffffc10, v8
	v_or_b32_e32 v5, v10, v5
	v_lshl_or_b32 v9, v8, 12, v4
	v_cmp_gt_i32_e32 vcc, 1, v8
	v_cndmask_b32_e32 v5, v9, v5, vcc
	v_and_b32_e32 v9, 7, v5
	v_cmp_lt_i32_e32 vcc, 5, v9
	v_cmp_eq_u32_e64 s[0:1], 3, v9
	v_lshrrev_b32_e32 v5, 2, v5
	s_or_b64 vcc, s[0:1], vcc
	v_addc_co_u32_e32 v5, vcc, 0, v5, vcc
	v_cmp_gt_i32_e32 vcc, 31, v8
	v_cndmask_b32_e32 v5, v2, v5, vcc
	v_cmp_ne_u32_e32 vcc, 0, v4
	v_cndmask_b32_e64 v4, 0, 1, vcc
	v_lshl_or_b32 v2, v4, 9, v2
	v_cmp_eq_u32_e32 vcc, s14, v8
	v_cndmask_b32_e32 v2, v5, v2, vcc
	v_lshrrev_b32_e32 v4, 16, v6
	v_and_or_b32 v2, v4, s15, v2
	v_and_b32_e32 v3, 0xffff, v3
	v_add_co_u32_e32 v0, vcc, s6, v0
	v_lshl_or_b32 v2, v2, 16, v3
	v_addc_co_u32_e32 v1, vcc, v1, v7, vcc
	global_store_dword v[0:1], v2, off
.LBB0_31:
	s_endpgm
	.section	.rodata,"a",@progbits
	.p2align	6, 0x0
	.amdhsa_kernel bluestein_single_back_len540_dim1_half_op_CI_CI
		.amdhsa_group_segment_fixed_size 8640
		.amdhsa_private_segment_fixed_size 0
		.amdhsa_kernarg_size 104
		.amdhsa_user_sgpr_count 6
		.amdhsa_user_sgpr_private_segment_buffer 1
		.amdhsa_user_sgpr_dispatch_ptr 0
		.amdhsa_user_sgpr_queue_ptr 0
		.amdhsa_user_sgpr_kernarg_segment_ptr 1
		.amdhsa_user_sgpr_dispatch_id 0
		.amdhsa_user_sgpr_flat_scratch_init 0
		.amdhsa_user_sgpr_private_segment_size 0
		.amdhsa_uses_dynamic_stack 0
		.amdhsa_system_sgpr_private_segment_wavefront_offset 0
		.amdhsa_system_sgpr_workgroup_id_x 1
		.amdhsa_system_sgpr_workgroup_id_y 0
		.amdhsa_system_sgpr_workgroup_id_z 0
		.amdhsa_system_sgpr_workgroup_info 0
		.amdhsa_system_vgpr_workitem_id 0
		.amdhsa_next_free_vgpr 82
		.amdhsa_next_free_sgpr 18
		.amdhsa_reserve_vcc 1
		.amdhsa_reserve_flat_scratch 0
		.amdhsa_float_round_mode_32 0
		.amdhsa_float_round_mode_16_64 0
		.amdhsa_float_denorm_mode_32 3
		.amdhsa_float_denorm_mode_16_64 3
		.amdhsa_dx10_clamp 1
		.amdhsa_ieee_mode 1
		.amdhsa_fp16_overflow 0
		.amdhsa_exception_fp_ieee_invalid_op 0
		.amdhsa_exception_fp_denorm_src 0
		.amdhsa_exception_fp_ieee_div_zero 0
		.amdhsa_exception_fp_ieee_overflow 0
		.amdhsa_exception_fp_ieee_underflow 0
		.amdhsa_exception_fp_ieee_inexact 0
		.amdhsa_exception_int_div_zero 0
	.end_amdhsa_kernel
	.text
.Lfunc_end0:
	.size	bluestein_single_back_len540_dim1_half_op_CI_CI, .Lfunc_end0-bluestein_single_back_len540_dim1_half_op_CI_CI
                                        ; -- End function
	.section	.AMDGPU.csdata,"",@progbits
; Kernel info:
; codeLenInByte = 16988
; NumSgprs: 22
; NumVgprs: 82
; ScratchSize: 0
; MemoryBound: 0
; FloatMode: 240
; IeeeMode: 1
; LDSByteSize: 8640 bytes/workgroup (compile time only)
; SGPRBlocks: 2
; VGPRBlocks: 20
; NumSGPRsForWavesPerEU: 22
; NumVGPRsForWavesPerEU: 82
; Occupancy: 3
; WaveLimiterHint : 1
; COMPUTE_PGM_RSRC2:SCRATCH_EN: 0
; COMPUTE_PGM_RSRC2:USER_SGPR: 6
; COMPUTE_PGM_RSRC2:TRAP_HANDLER: 0
; COMPUTE_PGM_RSRC2:TGID_X_EN: 1
; COMPUTE_PGM_RSRC2:TGID_Y_EN: 0
; COMPUTE_PGM_RSRC2:TGID_Z_EN: 0
; COMPUTE_PGM_RSRC2:TIDIG_COMP_CNT: 0
	.type	__hip_cuid_41b00fafa37eb45,@object ; @__hip_cuid_41b00fafa37eb45
	.section	.bss,"aw",@nobits
	.globl	__hip_cuid_41b00fafa37eb45
__hip_cuid_41b00fafa37eb45:
	.byte	0                               ; 0x0
	.size	__hip_cuid_41b00fafa37eb45, 1

	.ident	"AMD clang version 19.0.0git (https://github.com/RadeonOpenCompute/llvm-project roc-6.4.0 25133 c7fe45cf4b819c5991fe208aaa96edf142730f1d)"
	.section	".note.GNU-stack","",@progbits
	.addrsig
	.addrsig_sym __hip_cuid_41b00fafa37eb45
	.amdgpu_metadata
---
amdhsa.kernels:
  - .args:
      - .actual_access:  read_only
        .address_space:  global
        .offset:         0
        .size:           8
        .value_kind:     global_buffer
      - .actual_access:  read_only
        .address_space:  global
        .offset:         8
        .size:           8
        .value_kind:     global_buffer
      - .actual_access:  read_only
        .address_space:  global
        .offset:         16
        .size:           8
        .value_kind:     global_buffer
      - .actual_access:  read_only
        .address_space:  global
        .offset:         24
        .size:           8
        .value_kind:     global_buffer
      - .actual_access:  read_only
        .address_space:  global
        .offset:         32
        .size:           8
        .value_kind:     global_buffer
      - .offset:         40
        .size:           8
        .value_kind:     by_value
      - .address_space:  global
        .offset:         48
        .size:           8
        .value_kind:     global_buffer
      - .address_space:  global
        .offset:         56
        .size:           8
        .value_kind:     global_buffer
      - .address_space:  global
        .offset:         64
        .size:           8
        .value_kind:     global_buffer
      - .address_space:  global
        .offset:         72
        .size:           8
        .value_kind:     global_buffer
      - .offset:         80
        .size:           4
        .value_kind:     by_value
      - .address_space:  global
        .offset:         88
        .size:           8
        .value_kind:     global_buffer
      - .address_space:  global
        .offset:         96
        .size:           8
        .value_kind:     global_buffer
    .group_segment_fixed_size: 8640
    .kernarg_segment_align: 8
    .kernarg_segment_size: 104
    .language:       OpenCL C
    .language_version:
      - 2
      - 0
    .max_flat_workgroup_size: 216
    .name:           bluestein_single_back_len540_dim1_half_op_CI_CI
    .private_segment_fixed_size: 0
    .sgpr_count:     22
    .sgpr_spill_count: 0
    .symbol:         bluestein_single_back_len540_dim1_half_op_CI_CI.kd
    .uniform_work_group_size: 1
    .uses_dynamic_stack: false
    .vgpr_count:     82
    .vgpr_spill_count: 0
    .wavefront_size: 64
amdhsa.target:   amdgcn-amd-amdhsa--gfx906
amdhsa.version:
  - 1
  - 2
...

	.end_amdgpu_metadata
